;; amdgpu-corpus repo=ROCm/rocFFT kind=compiled arch=gfx906 opt=O3
	.text
	.amdgcn_target "amdgcn-amd-amdhsa--gfx906"
	.amdhsa_code_object_version 6
	.protected	bluestein_single_fwd_len150_dim1_dp_op_CI_CI ; -- Begin function bluestein_single_fwd_len150_dim1_dp_op_CI_CI
	.globl	bluestein_single_fwd_len150_dim1_dp_op_CI_CI
	.p2align	8
	.type	bluestein_single_fwd_len150_dim1_dp_op_CI_CI,@function
bluestein_single_fwd_len150_dim1_dp_op_CI_CI: ; @bluestein_single_fwd_len150_dim1_dp_op_CI_CI
; %bb.0:
	v_mul_u32_u24_e32 v1, 0x3334, v0
	s_mov_b64 s[38:39], s[2:3]
	s_load_dwordx4 s[16:19], s[4:5], 0x28
	v_lshrrev_b32_e32 v1, 16, v1
	s_mov_b64 s[36:37], s[0:1]
	v_mad_u64_u32 v[2:3], s[0:1], s6, 12, v[1:2]
	v_mov_b32_e32 v3, 0
	s_add_u32 s36, s36, s7
	s_waitcnt lgkmcnt(0)
	v_cmp_gt_u64_e32 vcc, s[16:17], v[2:3]
	s_addc_u32 s37, s37, 0
	s_and_saveexec_b64 s[0:1], vcc
	s_cbranch_execz .LBB0_2
; %bb.1:
	s_load_dwordx4 s[0:3], s[4:5], 0x18
	s_load_dwordx4 s[8:11], s[4:5], 0x0
	v_mul_lo_u16_e32 v1, 5, v1
	v_sub_u16_e32 v170, v0, v1
	v_mov_b32_e32 v58, v2
	s_waitcnt lgkmcnt(0)
	s_load_dwordx4 s[12:15], s[0:1], 0x0
	v_mov_b32_e32 v7, s19
	s_add_u32 s20, s8, 0x960
	s_addc_u32 s21, s9, 0
	v_or_b32_e32 v8, 0x78, v170
	s_waitcnt lgkmcnt(0)
	v_mad_u64_u32 v[4:5], s[0:1], s12, v170, 0
	v_mad_u64_u32 v[0:1], s[0:1], s14, v2, 0
	v_mov_b32_e32 v2, v5
	s_mul_hi_u32 s6, s12, 0xf0
	v_mad_u64_u32 v[5:6], s[0:1], s15, v58, v[1:2]
	v_mad_u64_u32 v[2:3], s[0:1], s13, v170, v[2:3]
	v_mov_b32_e32 v1, v5
	v_lshlrev_b64 v[0:1], 4, v[0:1]
	v_mov_b32_e32 v5, v2
	v_add_co_u32_e32 v3, vcc, s18, v0
	v_addc_co_u32_e32 v60, vcc, v7, v1, vcc
	v_lshlrev_b64 v[0:1], 4, v[4:5]
	s_mul_i32 s0, s13, 0xf0
	v_add_co_u32_e32 v4, vcc, v3, v0
	v_addc_co_u32_e32 v5, vcc, v60, v1, vcc
	s_add_i32 s6, s6, s0
	s_mul_i32 s7, s12, 0xf0
	global_load_dwordx4 v[16:19], v[4:5], off
	v_add_co_u32_e32 v4, vcc, s7, v4
	v_mov_b32_e32 v0, s6
	v_lshlrev_b32_e32 v1, 4, v170
	v_addc_co_u32_e32 v5, vcc, v5, v0, vcc
	global_load_dwordx4 v[67:70], v1, s[8:9]
	global_load_dwordx4 v[20:23], v[4:5], off
	global_load_dwordx4 v[71:74], v1, s[8:9] offset:240
	v_add_co_u32_e32 v4, vcc, s7, v4
	v_addc_co_u32_e32 v5, vcc, v5, v0, vcc
	global_load_dwordx4 v[24:27], v[4:5], off
	global_load_dwordx4 v[95:98], v1, s[8:9] offset:480
	v_add_co_u32_e32 v4, vcc, s7, v4
	v_addc_co_u32_e32 v5, vcc, v5, v0, vcc
	;; [unrolled: 4-line block ×3, first 2 shown]
	v_mad_u64_u32 v[6:7], s[0:1], s12, v8, 0
	global_load_dwordx4 v[32:35], v[4:5], off
	global_load_dwordx4 v[103:106], v1, s[8:9] offset:960
	v_add_co_u32_e32 v4, vcc, s7, v4
	v_addc_co_u32_e32 v5, vcc, v5, v0, vcc
	global_load_dwordx4 v[36:39], v[4:5], off
	global_load_dwordx4 v[107:110], v1, s[8:9] offset:1200
	v_add_co_u32_e32 v4, vcc, s7, v4
	v_addc_co_u32_e32 v5, vcc, v5, v0, vcc
	v_mov_b32_e32 v0, v7
	global_load_dwordx4 v[40:43], v[4:5], off
	global_load_dwordx4 v[111:114], v1, s[8:9] offset:1440
	v_add_co_u32_e32 v4, vcc, s7, v4
	buffer_store_dword v8, off, s[36:39], 0 offset:36 ; 4-byte Folded Spill
	v_mad_u64_u32 v[7:8], s[0:1], s13, v8, v[0:1]
	v_mov_b32_e32 v2, s6
	v_addc_co_u32_e32 v5, vcc, v5, v2, vcc
	v_lshlrev_b64 v[6:7], 4, v[6:7]
	s_mul_i32 s0, s13, 0x1e0
	v_add_co_u32_e32 v6, vcc, v3, v6
	s_mul_hi_u32 s14, s12, 0x1e0
	v_addc_co_u32_e32 v7, vcc, v60, v7, vcc
	s_add_i32 s14, s14, s0
	s_mul_i32 s15, s12, 0x1e0
	global_load_dwordx4 v[44:47], v[4:5], off
	global_load_dwordx4 v[119:122], v1, s[8:9] offset:1680
	v_add_co_u32_e32 v4, vcc, s15, v4
	v_mov_b32_e32 v0, s14
	v_addc_co_u32_e32 v5, vcc, v5, v0, vcc
	v_mov_b32_e32 v0, 0xfffff7e0
	global_load_dwordx4 v[48:51], v[6:7], off
	global_load_dwordx4 v[115:118], v1, s[8:9] offset:1920
	global_load_dwordx4 v[52:55], v[4:5], off
	v_mad_u64_u32 v[4:5], s[0:1], s12, v0, v[4:5]
	s_mul_i32 s0, s13, 0xfffff7e0
	s_sub_i32 s16, s0, s12
	v_add_u32_e32 v5, s16, v5
	v_add_co_u32_e32 v8, vcc, s7, v4
	v_mov_b32_e32 v0, s6
	v_addc_co_u32_e32 v9, vcc, v5, v0, vcc
	v_add_co_u32_e32 v12, vcc, s7, v8
	v_addc_co_u32_e32 v13, vcc, v9, v0, vcc
	v_add_co_u32_e32 v56, vcc, s7, v12
	v_addc_co_u32_e32 v57, vcc, v13, v0, vcc
	v_mov_b32_e32 v2, v58
	global_load_dwordx4 v[123:126], v1, s[8:9] offset:2160
	global_load_dwordx4 v[82:85], v[4:5], off
	global_load_dwordx4 v[75:78], v1, s[8:9] offset:80
	s_nop 0
	global_load_dwordx4 v[4:7], v[8:9], off
	global_load_dwordx4 v[87:90], v1, s[8:9] offset:320
	s_nop 0
	;; [unrolled: 3-line block ×4, first 2 shown]
	buffer_store_dword v2, off, s[36:39], 0 offset:328 ; 4-byte Folded Spill
	s_nop 0
	buffer_store_dword v3, off, s[36:39], 0 offset:332 ; 4-byte Folded Spill
	s_waitcnt vmcnt(29)
	buffer_store_dword v67, off, s[36:39], 0 offset:312 ; 4-byte Folded Spill
	s_nop 0
	buffer_store_dword v68, off, s[36:39], 0 offset:316 ; 4-byte Folded Spill
	buffer_store_dword v69, off, s[36:39], 0 offset:320 ; 4-byte Folded Spill
	;; [unrolled: 1-line block ×3, first 2 shown]
	s_waitcnt vmcnt(31)
	buffer_store_dword v71, off, s[36:39], 0 offset:296 ; 4-byte Folded Spill
	s_nop 0
	buffer_store_dword v72, off, s[36:39], 0 offset:300 ; 4-byte Folded Spill
	buffer_store_dword v73, off, s[36:39], 0 offset:304 ; 4-byte Folded Spill
	;; [unrolled: 1-line block ×3, first 2 shown]
	s_mov_b32 s0, 0xaaaaaaab
	v_mov_b32_e32 v86, 0xfffff7e0
	s_mov_b32 s26, 0x9b97f4a8
	s_mov_b32 s27, 0x3fe9e377
	;; [unrolled: 1-line block ×5, first 2 shown]
	s_movk_i32 s28, 0xcd
	v_mov_b32_e32 v200, v170
	s_load_dwordx2 s[4:5], s[4:5], 0x38
	s_waitcnt vmcnt(16)
	v_mov_b32_e32 v198, v78
	s_waitcnt vmcnt(14)
	v_mov_b32_e32 v194, v90
	v_mul_f64 v[58:59], v[18:19], v[69:70]
	v_mul_hi_u32 v0, v2, s0
	s_load_dwordx4 s[0:3], s[2:3], 0x0
	buffer_store_dword v95, off, s[36:39], 0 offset:280 ; 4-byte Folded Spill
	s_nop 0
	buffer_store_dword v96, off, s[36:39], 0 offset:284 ; 4-byte Folded Spill
	buffer_store_dword v97, off, s[36:39], 0 offset:288 ; 4-byte Folded Spill
	buffer_store_dword v98, off, s[36:39], 0 offset:292 ; 4-byte Folded Spill
	buffer_store_dword v99, off, s[36:39], 0 offset:264 ; 4-byte Folded Spill
	s_nop 0
	buffer_store_dword v100, off, s[36:39], 0 offset:268 ; 4-byte Folded Spill
	buffer_store_dword v101, off, s[36:39], 0 offset:272 ; 4-byte Folded Spill
	buffer_store_dword v102, off, s[36:39], 0 offset:276 ; 4-byte Folded Spill
	;; [unrolled: 5-line block ×4, first 2 shown]
	v_mul_f64 v[61:62], v[16:17], v[69:70]
	v_mul_f64 v[63:64], v[22:23], v[73:74]
	;; [unrolled: 1-line block ×3, first 2 shown]
	v_fma_f64 v[16:17], v[16:17], v[67:68], v[58:59]
	v_lshrrev_b32_e32 v0, 3, v0
	v_mul_lo_u32 v0, v0, 12
	v_mov_b32_e32 v193, v89
	v_mov_b32_e32 v192, v88
	v_fma_f64 v[18:19], v[18:19], v[67:68], -v[61:62]
	v_fma_f64 v[20:21], v[20:21], v[71:72], v[63:64]
	v_fma_f64 v[22:23], v[22:23], v[71:72], -v[65:66]
	v_sub_u32_e32 v0, v2, v0
	v_mul_u32_u24_e32 v0, 0x96, v0
	v_lshlrev_b32_e32 v2, 4, v0
	v_add_u32_e32 v0, v1, v2
	v_mov_b32_e32 v191, v87
	v_mov_b32_e32 v197, v77
	;; [unrolled: 1-line block ×4, first 2 shown]
	s_waitcnt vmcnt(28)
	v_mov_b32_e32 v190, v94
	v_mov_b32_e32 v189, v93
	;; [unrolled: 1-line block ×4, first 2 shown]
	s_waitcnt vmcnt(26)
	v_mul_f64 v[80:81], v[14:15], v[162:163]
	v_mul_f64 v[58:59], v[26:27], v[97:98]
	;; [unrolled: 1-line block ×9, first 2 shown]
	v_fma_f64 v[24:25], v[24:25], v[95:96], v[58:59]
	v_fma_f64 v[26:27], v[26:27], v[95:96], -v[61:62]
	v_fma_f64 v[28:29], v[28:29], v[99:100], v[63:64]
	v_fma_f64 v[30:31], v[30:31], v[99:100], -v[65:66]
	;; [unrolled: 2-line block ×4, first 2 shown]
	ds_write_b128 v0, v[16:19]
	ds_write_b128 v0, v[20:23] offset:240
	ds_write_b128 v0, v[24:27] offset:480
	;; [unrolled: 1-line block ×5, first 2 shown]
	buffer_store_dword v111, off, s[36:39], 0 offset:184 ; 4-byte Folded Spill
	s_nop 0
	buffer_store_dword v112, off, s[36:39], 0 offset:188 ; 4-byte Folded Spill
	buffer_store_dword v113, off, s[36:39], 0 offset:192 ; 4-byte Folded Spill
	buffer_store_dword v114, off, s[36:39], 0 offset:196 ; 4-byte Folded Spill
	buffer_store_dword v119, off, s[36:39], 0 offset:168 ; 4-byte Folded Spill
	s_nop 0
	buffer_store_dword v120, off, s[36:39], 0 offset:172 ; 4-byte Folded Spill
	buffer_store_dword v121, off, s[36:39], 0 offset:176 ; 4-byte Folded Spill
	buffer_store_dword v122, off, s[36:39], 0 offset:180 ; 4-byte Folded Spill
	;; [unrolled: 5-line block ×4, first 2 shown]
	v_or_b32_e32 v34, 0x50, v170
	v_mad_u64_u32 v[36:37], s[18:19], s12, v34, 0
	v_mov_b32_e32 v33, s6
	buffer_store_dword v34, off, s[36:39], 0 offset:16 ; 4-byte Folded Spill
	v_mov_b32_e32 v32, v37
	v_mad_u64_u32 v[37:38], s[18:19], s13, v34, v[32:33]
	v_or_b32_e32 v66, 40, v170
	v_mov_b32_e32 v65, s6
	v_lshlrev_b64 v[36:37], 4, v[36:37]
	v_mul_f64 v[72:73], v[6:7], v[89:90]
	v_mul_f64 v[74:75], v[4:5], v[89:90]
	;; [unrolled: 1-line block ×6, first 2 shown]
	v_mov_b32_e32 v236, v66
	v_mul_f64 v[16:17], v[42:43], v[113:114]
	v_mul_f64 v[20:21], v[46:47], v[121:122]
	;; [unrolled: 1-line block ×8, first 2 shown]
	v_fma_f64 v[16:17], v[40:41], v[111:112], v[16:17]
	v_add_co_u32_e32 v40, vcc, s7, v56
	v_addc_co_u32_e32 v41, vcc, v57, v33, vcc
	v_add_co_u32_e32 v36, vcc, v3, v36
	v_addc_co_u32_e32 v37, vcc, v60, v37, vcc
	v_fma_f64 v[20:21], v[44:45], v[119:120], v[20:21]
	global_load_dwordx4 v[32:35], v[40:41], off
	global_load_dwordx4 v[183:186], v1, s[8:9] offset:1040
	v_add_co_u32_e32 v44, vcc, s15, v40
	v_mov_b32_e32 v40, s14
	v_addc_co_u32_e32 v45, vcc, v41, v40, vcc
	v_fma_f64 v[18:19], v[42:43], v[111:112], -v[18:19]
	v_fma_f64 v[24:25], v[48:49], v[115:116], v[24:25]
	global_load_dwordx4 v[36:39], v[36:37], off
	s_nop 0
	global_load_dwordx4 v[179:182], v1, s[8:9] offset:1280
	global_load_dwordx4 v[40:43], v[44:45], off
	global_load_dwordx4 v[175:178], v1, s[8:9] offset:1520
	v_add_co_u32_e32 v48, vcc, s7, v44
	v_mov_b32_e32 v44, s6
	v_addc_co_u32_e32 v49, vcc, v45, v44, vcc
	v_fma_f64 v[22:23], v[46:47], v[119:120], -v[22:23]
	v_fma_f64 v[28:29], v[52:53], v[123:124], v[28:29]
	global_load_dwordx4 v[44:47], v[48:49], off
	global_load_dwordx4 v[164:167], v1, s[8:9] offset:1760
	v_add_co_u32_e32 v52, vcc, s7, v48
	v_mov_b32_e32 v48, s6
	v_addc_co_u32_e32 v53, vcc, v49, v48, vcc
	v_fma_f64 v[26:27], v[50:51], v[115:116], -v[26:27]
	v_fma_f64 v[30:31], v[54:55], v[123:124], -v[30:31]
	global_load_dwordx4 v[48:51], v[52:53], off
	v_add_co_u32_e32 v52, vcc, s7, v52
	v_mov_b32_e32 v54, s6
	v_addc_co_u32_e32 v53, vcc, v53, v54, vcc
	v_mad_u64_u32 v[61:62], s[18:19], s12, v86, v[52:53]
	global_load_dwordx4 v[171:174], v1, s[8:9] offset:2000
	s_nop 0
	global_load_dwordx4 v[52:55], v[52:53], off
	s_nop 0
	global_load_dwordx4 v[120:123], v1, s[8:9] offset:2240
	s_mov_b32 s19, 0xbfe2cf23
	v_add_u32_e32 v62, s16, v62
	v_mad_u64_u32 v[86:87], s[16:17], s12, v66, 0
	global_load_dwordx4 v[56:59], v[61:62], off
	global_load_dwordx4 v[152:155], v1, s[8:9] offset:160
	v_add_co_u32_e32 v88, vcc, s7, v61
	v_mov_b32_e32 v61, v87
	v_mad_u64_u32 v[63:64], s[12:13], s13, v66, v[61:62]
	v_addc_co_u32_e32 v89, vcc, v62, v65, vcc
	v_mov_b32_e32 v87, v63
	v_lshlrev_b64 v[61:62], 4, v[86:87]
	global_load_dwordx4 v[64:67], v[88:89], off
	global_load_dwordx4 v[156:159], v1, s[8:9] offset:400
	v_add_co_u32_e32 v61, vcc, v3, v61
	v_addc_co_u32_e32 v62, vcc, v60, v62, vcc
	v_add_co_u32_e32 v90, vcc, s15, v88
	v_mov_b32_e32 v3, s14
	v_addc_co_u32_e32 v91, vcc, v89, v3, vcc
	v_add_co_u32_e32 v94, vcc, s7, v90
	v_mov_b32_e32 v3, s6
	v_addc_co_u32_e32 v95, vcc, v91, v3, vcc
	v_add_co_u32_e32 v98, vcc, s7, v94
	v_addc_co_u32_e32 v99, vcc, v95, v3, vcc
	v_add_co_u32_e32 v102, vcc, s7, v98
	v_addc_co_u32_e32 v103, vcc, v99, v3, vcc
	v_add_co_u32_e32 v106, vcc, s7, v102
	v_addc_co_u32_e32 v107, vcc, v103, v3, vcc
	v_add_co_u32_e32 v110, vcc, s7, v106
	v_addc_co_u32_e32 v111, vcc, v107, v3, vcc
	global_load_dwordx4 v[60:63], v[61:62], off
	s_nop 0
	global_load_dwordx4 v[148:151], v1, s[8:9] offset:640
	global_load_dwordx4 v[86:89], v[90:91], off
	global_load_dwordx4 v[132:135], v1, s[8:9] offset:880
	s_nop 0
	global_load_dwordx4 v[90:93], v[94:95], off
	global_load_dwordx4 v[144:147], v1, s[8:9] offset:1120
	s_nop 0
	;; [unrolled: 3-line block ×5, first 2 shown]
	global_load_dwordx4 v[106:109], v[110:111], off
	global_load_dwordx4 v[116:119], v1, s[8:9] offset:2080
	v_add_co_u32_e32 v110, vcc, s7, v110
	v_addc_co_u32_e32 v111, vcc, v111, v3, vcc
	global_load_dwordx4 v[110:113], v[110:111], off
	s_nop 0
	global_load_dwordx4 v[124:127], v1, s[8:9] offset:2320
	s_nop 0
	buffer_store_dword v160, off, s[36:39], 0 offset:416 ; 4-byte Folded Spill
	s_nop 0
	buffer_store_dword v161, off, s[36:39], 0 offset:420 ; 4-byte Folded Spill
	buffer_store_dword v162, off, s[36:39], 0 offset:424 ; 4-byte Folded Spill
	buffer_store_dword v163, off, s[36:39], 0 offset:428 ; 4-byte Folded Spill
	buffer_store_dword v195, off, s[36:39], 0 offset:480 ; 4-byte Folded Spill
	s_nop 0
	buffer_store_dword v196, off, s[36:39], 0 offset:484 ; 4-byte Folded Spill
	buffer_store_dword v197, off, s[36:39], 0 offset:488 ; 4-byte Folded Spill
	buffer_store_dword v198, off, s[36:39], 0 offset:492 ; 4-byte Folded Spill
	;; [unrolled: 5-line block ×4, first 2 shown]
	s_mov_b32 s6, 0x134454ff
	s_mov_b32 s7, 0x3fee6f0e
	;; [unrolled: 1-line block ×10, first 2 shown]
	v_mul_f64 v[114:115], v[12:13], v[162:163]
	v_fma_f64 v[68:69], v[82:83], v[195:196], v[68:69]
	v_fma_f64 v[70:71], v[84:85], v[195:196], -v[70:71]
	v_fma_f64 v[3:4], v[4:5], v[191:192], v[72:73]
	v_fma_f64 v[5:6], v[6:7], v[191:192], -v[74:75]
	;; [unrolled: 2-line block ×4, first 2 shown]
	ds_write_b128 v0, v[16:19] offset:1440
	ds_write_b128 v0, v[20:23] offset:1680
	;; [unrolled: 1-line block ×8, first 2 shown]
	s_waitcnt vmcnt(46)
	buffer_store_dword v183, off, s[36:39], 0 offset:432 ; 4-byte Folded Spill
	s_nop 0
	buffer_store_dword v184, off, s[36:39], 0 offset:436 ; 4-byte Folded Spill
	buffer_store_dword v185, off, s[36:39], 0 offset:440 ; 4-byte Folded Spill
	buffer_store_dword v186, off, s[36:39], 0 offset:444 ; 4-byte Folded Spill
	s_waitcnt vmcnt(48)
	buffer_store_dword v179, off, s[36:39], 0 offset:400 ; 4-byte Folded Spill
	s_nop 0
	buffer_store_dword v180, off, s[36:39], 0 offset:404 ; 4-byte Folded Spill
	buffer_store_dword v181, off, s[36:39], 0 offset:408 ; 4-byte Folded Spill
	buffer_store_dword v182, off, s[36:39], 0 offset:412 ; 4-byte Folded Spill
	;; [unrolled: 6-line block ×8, first 2 shown]
	v_mul_f64 v[3:4], v[34:35], v[185:186]
	v_mul_f64 v[5:6], v[32:33], v[185:186]
	;; [unrolled: 1-line block ×14, first 2 shown]
	v_fma_f64 v[3:4], v[32:33], v[183:184], v[3:4]
	v_fma_f64 v[5:6], v[34:35], v[183:184], -v[5:6]
	v_mul_f64 v[31:32], v[66:67], v[158:159]
	v_mul_f64 v[33:34], v[64:65], v[158:159]
	v_fma_f64 v[7:8], v[36:37], v[179:180], v[7:8]
	v_fma_f64 v[9:10], v[38:39], v[179:180], -v[9:10]
	v_fma_f64 v[11:12], v[40:41], v[175:176], v[11:12]
	v_fma_f64 v[13:14], v[42:43], v[175:176], -v[13:14]
	;; [unrolled: 2-line block ×7, first 2 shown]
	ds_write_b128 v0, v[3:6] offset:1040
	ds_write_b128 v0, v[7:10] offset:1280
	;; [unrolled: 1-line block ×8, first 2 shown]
	s_waitcnt vmcnt(62)
	buffer_store_dword v148, off, s[36:39], 0 offset:120 ; 4-byte Folded Spill
	s_nop 0
	buffer_store_dword v149, off, s[36:39], 0 offset:124 ; 4-byte Folded Spill
	buffer_store_dword v150, off, s[36:39], 0 offset:128 ; 4-byte Folded Spill
	;; [unrolled: 1-line block ×3, first 2 shown]
	s_waitcnt vmcnt(62)
	buffer_store_dword v132, off, s[36:39], 0 offset:104 ; 4-byte Folded Spill
	s_nop 0
	buffer_store_dword v133, off, s[36:39], 0 offset:108 ; 4-byte Folded Spill
	buffer_store_dword v134, off, s[36:39], 0 offset:112 ; 4-byte Folded Spill
	;; [unrolled: 1-line block ×4, first 2 shown]
	s_nop 0
	buffer_store_dword v145, off, s[36:39], 0 offset:92 ; 4-byte Folded Spill
	buffer_store_dword v146, off, s[36:39], 0 offset:96 ; 4-byte Folded Spill
	;; [unrolled: 1-line block ×3, first 2 shown]
	s_waitcnt vmcnt(62)
	buffer_store_dword v128, off, s[36:39], 0 offset:56 ; 4-byte Folded Spill
	s_nop 0
	buffer_store_dword v129, off, s[36:39], 0 offset:60 ; 4-byte Folded Spill
	buffer_store_dword v130, off, s[36:39], 0 offset:64 ; 4-byte Folded Spill
	;; [unrolled: 1-line block ×3, first 2 shown]
	s_waitcnt vmcnt(62)
	buffer_store_dword v124, off, s[36:39], 0 ; 4-byte Folded Spill
	s_nop 0
	buffer_store_dword v125, off, s[36:39], 0 offset:4 ; 4-byte Folded Spill
	buffer_store_dword v126, off, s[36:39], 0 offset:8 ; 4-byte Folded Spill
	buffer_store_dword v127, off, s[36:39], 0 offset:12 ; 4-byte Folded Spill
	v_mul_f64 v[19:20], v[100:101], v[142:143]
	v_mul_f64 v[21:22], v[98:99], v[142:143]
	buffer_store_dword v140, off, s[36:39], 0 offset:72 ; 4-byte Folded Spill
	s_nop 0
	buffer_store_dword v141, off, s[36:39], 0 offset:76 ; 4-byte Folded Spill
	buffer_store_dword v142, off, s[36:39], 0 offset:80 ; 4-byte Folded Spill
	buffer_store_dword v143, off, s[36:39], 0 offset:84 ; 4-byte Folded Spill
	v_mul_f64 v[23:24], v[104:105], v[138:139]
	v_mul_f64 v[25:26], v[102:103], v[138:139]
	buffer_store_dword v136, off, s[36:39], 0 offset:40 ; 4-byte Folded Spill
	;; [unrolled: 7-line block ×3, first 2 shown]
	s_nop 0
	buffer_store_dword v117, off, s[36:39], 0 offset:24 ; 4-byte Folded Spill
	buffer_store_dword v118, off, s[36:39], 0 offset:28 ; 4-byte Folded Spill
	;; [unrolled: 1-line block ×3, first 2 shown]
	v_mul_f64 v[3:4], v[62:63], v[150:151]
	v_mul_f64 v[5:6], v[60:61], v[150:151]
	;; [unrolled: 1-line block ×10, first 2 shown]
	v_fma_f64 v[3:4], v[60:61], v[148:149], v[3:4]
	v_fma_f64 v[5:6], v[62:63], v[148:149], -v[5:6]
	v_fma_f64 v[7:8], v[86:87], v[132:133], v[7:8]
	v_fma_f64 v[9:10], v[88:89], v[132:133], -v[9:10]
	;; [unrolled: 2-line block ×8, first 2 shown]
	ds_write_b128 v0, v[3:6] offset:640
	ds_write_b128 v0, v[7:10] offset:880
	;; [unrolled: 1-line block ×8, first 2 shown]
	s_waitcnt lgkmcnt(0)
	; wave barrier
	s_waitcnt lgkmcnt(0)
	ds_read_b128 v[40:43], v0
	ds_read_b128 v[16:19], v0 offset:240
	ds_read_b128 v[20:23], v0 offset:480
	;; [unrolled: 1-line block ×8, first 2 shown]
	s_waitcnt lgkmcnt(6)
	v_add_f64 v[24:25], v[40:41], v[20:21]
	s_waitcnt lgkmcnt(4)
	v_add_f64 v[102:103], v[20:21], -v[28:29]
	s_waitcnt lgkmcnt(2)
	v_add_f64 v[26:27], v[28:29], v[32:33]
	v_add_f64 v[100:101], v[30:31], -v[34:35]
	s_waitcnt lgkmcnt(0)
	v_add_f64 v[104:105], v[36:37], -v[32:33]
	v_add_f64 v[106:107], v[20:21], v[36:37]
	v_add_f64 v[94:95], v[22:23], -v[38:39]
	v_add_f64 v[110:111], v[28:29], -v[20:21]
	v_add_f64 v[24:25], v[24:25], v[28:29]
	v_add_f64 v[112:113], v[32:33], -v[36:37]
	v_fma_f64 v[92:93], v[26:27], -0.5, v[40:41]
	v_add_f64 v[20:21], v[20:21], -v[36:37]
	v_add_f64 v[102:103], v[102:103], v[104:105]
	v_fma_f64 v[40:41], v[106:107], -0.5, v[40:41]
	v_add_f64 v[104:105], v[42:43], v[22:23]
	v_add_f64 v[106:107], v[30:31], v[34:35]
	;; [unrolled: 1-line block ×3, first 2 shown]
	v_add_f64 v[28:29], v[28:29], -v[32:33]
	v_fma_f64 v[98:99], v[94:95], s[6:7], v[92:93]
	v_fma_f64 v[92:93], v[94:95], s[16:17], v[92:93]
	ds_read_b128 v[44:47], v0 offset:2160
	v_fma_f64 v[108:109], v[100:101], s[16:17], v[40:41]
	v_fma_f64 v[40:41], v[100:101], s[6:7], v[40:41]
	v_add_f64 v[104:105], v[104:105], v[30:31]
	v_fma_f64 v[106:107], v[106:107], -0.5, v[42:43]
	v_add_f64 v[96:97], v[96:97], v[36:37]
	v_fma_f64 v[98:99], v[100:101], s[14:15], v[98:99]
	v_fma_f64 v[36:37], v[100:101], s[18:19], v[92:93]
	v_add_f64 v[92:93], v[22:23], v[38:39]
	v_fma_f64 v[100:101], v[94:95], s[14:15], v[108:109]
	v_add_f64 v[108:109], v[110:111], v[112:113]
	;; [unrolled: 2-line block ×3, first 2 shown]
	v_fma_f64 v[104:105], v[20:21], s[16:17], v[106:107]
	v_fma_f64 v[98:99], v[102:103], s[12:13], v[98:99]
	;; [unrolled: 1-line block ×3, first 2 shown]
	v_fma_f64 v[32:33], v[92:93], -0.5, v[42:43]
	v_add_f64 v[42:43], v[22:23], -v[30:31]
	v_add_f64 v[92:93], v[38:39], -v[34:35]
	v_fma_f64 v[36:37], v[108:109], s[12:13], v[100:101]
	v_fma_f64 v[100:101], v[108:109], s[12:13], v[40:41]
	;; [unrolled: 1-line block ×3, first 2 shown]
	v_add_f64 v[104:105], v[16:17], v[8:9]
	v_add_f64 v[108:109], v[12:13], v[4:5]
	;; [unrolled: 1-line block ×3, first 2 shown]
	v_add_f64 v[22:23], v[30:31], -v[22:23]
	v_add_f64 v[42:43], v[42:43], v[92:93]
	v_fma_f64 v[92:93], v[20:21], s[6:7], v[106:107]
	v_fma_f64 v[106:107], v[28:29], s[6:7], v[32:33]
	v_add_f64 v[30:31], v[34:35], -v[38:39]
	v_fma_f64 v[32:33], v[28:29], s[16:17], v[32:33]
	v_add_f64 v[34:35], v[104:105], v[12:13]
	v_fma_f64 v[38:39], v[108:109], -0.5, v[16:17]
	s_waitcnt lgkmcnt(0)
	v_add_f64 v[104:105], v[10:11], -v[46:47]
	v_fma_f64 v[108:109], v[42:43], s[12:13], v[40:41]
	v_fma_f64 v[28:29], v[28:29], s[14:15], v[92:93]
	;; [unrolled: 1-line block ×3, first 2 shown]
	v_add_f64 v[22:23], v[22:23], v[30:31]
	v_fma_f64 v[20:21], v[20:21], s[14:15], v[32:33]
	v_add_f64 v[30:31], v[8:9], v[44:45]
	v_add_f64 v[32:33], v[34:35], v[4:5]
	v_fma_f64 v[34:35], v[104:105], s[6:7], v[38:39]
	v_add_f64 v[92:93], v[14:15], -v[6:7]
	v_fma_f64 v[106:107], v[42:43], s[12:13], v[28:29]
	v_add_f64 v[28:29], v[8:9], -v[12:13]
	v_add_f64 v[42:43], v[44:45], -v[4:5]
	v_fma_f64 v[110:111], v[22:23], s[12:13], v[40:41]
	v_fma_f64 v[16:17], v[30:31], -0.5, v[16:17]
	v_fma_f64 v[30:31], v[22:23], s[12:13], v[20:21]
	v_add_f64 v[22:23], v[14:15], v[6:7]
	v_fma_f64 v[20:21], v[92:93], s[14:15], v[34:35]
	v_add_f64 v[34:35], v[10:11], v[46:47]
	;; [unrolled: 2-line block ×3, first 2 shown]
	v_add_f64 v[42:43], v[12:13], -v[8:9]
	v_fma_f64 v[40:41], v[92:93], s[16:17], v[16:17]
	v_add_f64 v[112:113], v[4:5], -v[44:45]
	v_add_f64 v[114:115], v[18:19], v[10:11]
	v_fma_f64 v[22:23], v[22:23], -0.5, v[18:19]
	v_fma_f64 v[18:19], v[34:35], -0.5, v[18:19]
	v_add_f64 v[8:9], v[8:9], -v[44:45]
	v_add_f64 v[3:4], v[12:13], -v[4:5]
	v_add_f64 v[32:33], v[32:33], v[44:45]
	v_fma_f64 v[34:35], v[92:93], s[18:19], v[38:39]
	v_fma_f64 v[12:13], v[104:105], s[14:15], v[40:41]
	v_add_f64 v[38:39], v[42:43], v[112:113]
	v_fma_f64 v[16:17], v[92:93], s[6:7], v[16:17]
	v_add_f64 v[40:41], v[114:115], v[14:15]
	v_fma_f64 v[42:43], v[8:9], s[16:17], v[22:23]
	v_add_f64 v[44:45], v[10:11], -v[14:15]
	v_add_f64 v[10:11], v[14:15], -v[10:11]
	v_fma_f64 v[14:15], v[3:4], s[6:7], v[18:19]
	v_add_f64 v[92:93], v[6:7], -v[46:47]
	v_add_f64 v[112:113], v[46:47], -v[6:7]
	v_fma_f64 v[18:19], v[3:4], s[16:17], v[18:19]
	v_fma_f64 v[20:21], v[28:29], s[12:13], v[20:21]
	v_fma_f64 v[22:23], v[8:9], s[6:7], v[22:23]
	v_add_f64 v[5:6], v[40:41], v[6:7]
	v_fma_f64 v[40:41], v[3:4], s[18:19], v[42:43]
	v_fma_f64 v[14:15], v[8:9], s[18:19], v[14:15]
	v_add_f64 v[10:11], v[10:11], v[92:93]
	v_add_f64 v[42:43], v[44:45], v[112:113]
	v_fma_f64 v[7:8], v[8:9], s[14:15], v[18:19]
	v_fma_f64 v[16:17], v[104:105], s[18:19], v[16:17]
	;; [unrolled: 1-line block ×4, first 2 shown]
	v_add_f64 v[34:35], v[5:6], v[46:47]
	ds_read_b128 v[76:79], v0 offset:80
	ds_read_b128 v[64:67], v0 offset:320
	;; [unrolled: 1-line block ×5, first 2 shown]
	v_fma_f64 v[14:15], v[10:11], s[12:13], v[14:15]
	v_fma_f64 v[28:29], v[42:43], s[12:13], v[40:41]
	v_fma_f64 v[6:7], v[10:11], s[12:13], v[7:8]
	v_mul_f64 v[8:9], v[20:21], s[26:27]
	v_fma_f64 v[22:23], v[38:39], s[12:13], v[16:17]
	v_fma_f64 v[16:17], v[42:43], s[12:13], v[3:4]
	ds_read_b128 v[60:63], v0 offset:1280
	ds_read_b128 v[80:83], v0 offset:1520
	;; [unrolled: 1-line block ×5, first 2 shown]
	v_fma_f64 v[12:13], v[38:39], s[12:13], v[12:13]
	v_mul_f64 v[10:11], v[14:15], s[6:7]
	v_mul_f64 v[40:41], v[18:19], s[22:23]
	v_fma_f64 v[42:43], v[28:29], s[14:15], v[8:9]
	v_mul_f64 v[8:9], v[20:21], s[18:19]
	v_mul_f64 v[38:39], v[22:23], s[24:25]
	v_add_f64 v[4:5], v[96:97], v[32:33]
	v_mul_f64 v[20:21], v[16:17], s[22:23]
	v_add_f64 v[44:45], v[96:97], -v[32:33]
	v_fma_f64 v[46:47], v[12:13], s[12:13], v[10:11]
	v_mul_f64 v[10:11], v[12:13], s[16:17]
	v_mul_f64 v[12:13], v[6:7], s[24:25]
	v_fma_f64 v[104:105], v[28:29], s[26:27], v[8:9]
	s_waitcnt lgkmcnt(3)
	v_add_f64 v[28:29], v[72:73], v[80:81]
	v_fma_f64 v[38:39], v[6:7], s[6:7], v[38:39]
	v_fma_f64 v[92:93], v[16:17], s[14:15], v[40:41]
	v_add_f64 v[16:17], v[98:99], v[42:43]
	v_add_f64 v[40:41], v[98:99], -v[42:43]
	v_add_f64 v[96:97], v[76:77], v[68:69]
	s_waitcnt lgkmcnt(1)
	v_add_f64 v[118:119], v[70:71], -v[86:87]
	v_add_f64 v[8:9], v[36:37], v[46:47]
	v_fma_f64 v[98:99], v[28:29], -0.5, v[76:77]
	v_fma_f64 v[114:115], v[22:23], s[16:17], v[12:13]
	v_fma_f64 v[116:117], v[18:19], s[18:19], v[20:21]
	v_add_f64 v[20:21], v[100:101], v[38:39]
	v_add_f64 v[12:13], v[102:103], v[92:93]
	;; [unrolled: 1-line block ×4, first 2 shown]
	v_add_f64 v[36:37], v[36:37], -v[46:47]
	v_add_f64 v[32:33], v[100:101], -v[38:39]
	;; [unrolled: 1-line block ×5, first 2 shown]
	v_add_f64 v[92:93], v[68:69], v[84:85]
	v_add_f64 v[94:95], v[96:97], v[72:73]
	v_fma_f64 v[96:97], v[118:119], s[6:7], v[98:99]
	v_add_f64 v[100:101], v[74:75], -v[82:83]
	v_add_f64 v[102:103], v[68:69], -v[72:73]
	;; [unrolled: 1-line block ×3, first 2 shown]
	v_fma_f64 v[112:113], v[14:15], s[12:13], v[10:11]
	v_add_f64 v[22:23], v[30:31], v[114:115]
	v_add_f64 v[14:15], v[106:107], v[116:117]
	v_add_f64 v[34:35], v[30:31], -v[114:115]
	v_fma_f64 v[98:99], v[118:119], s[16:17], v[98:99]
	v_fma_f64 v[76:77], v[92:93], -0.5, v[76:77]
	v_add_f64 v[30:31], v[106:107], -v[116:117]
	v_add_f64 v[92:93], v[94:95], v[80:81]
	v_fma_f64 v[94:95], v[100:101], s[14:15], v[96:97]
	v_add_f64 v[106:107], v[74:75], v[82:83]
	v_add_f64 v[102:103], v[102:103], v[104:105]
	;; [unrolled: 1-line block ×3, first 2 shown]
	v_add_f64 v[38:39], v[110:111], -v[112:113]
	v_add_f64 v[96:97], v[78:79], v[70:71]
	v_fma_f64 v[98:99], v[100:101], s[18:19], v[98:99]
	v_fma_f64 v[104:105], v[100:101], s[16:17], v[76:77]
	v_add_f64 v[108:109], v[72:73], -v[68:69]
	v_add_f64 v[110:111], v[80:81], -v[84:85]
	v_fma_f64 v[76:77], v[100:101], s[6:7], v[76:77]
	v_fma_f64 v[100:101], v[106:107], -0.5, v[78:79]
	v_fma_f64 v[106:107], v[102:103], s[12:13], v[94:95]
	v_add_f64 v[94:95], v[70:71], v[86:87]
	v_add_f64 v[96:97], v[96:97], v[74:75]
	v_add_f64 v[68:69], v[68:69], -v[84:85]
	v_fma_f64 v[102:103], v[102:103], s[12:13], v[98:99]
	v_fma_f64 v[98:99], v[118:119], s[14:15], v[104:105]
	v_add_f64 v[104:105], v[108:109], v[110:111]
	v_add_f64 v[72:73], v[72:73], -v[80:81]
	v_fma_f64 v[76:77], v[118:119], s[18:19], v[76:77]
	v_fma_f64 v[78:79], v[94:95], -0.5, v[78:79]
	v_add_f64 v[96:97], v[96:97], v[82:83]
	v_fma_f64 v[108:109], v[68:69], s[16:17], v[100:101]
	v_add_f64 v[80:81], v[60:61], v[56:57]
	v_add_f64 v[94:95], v[70:71], -v[74:75]
	v_add_f64 v[110:111], v[86:87], -v[82:83]
	v_fma_f64 v[112:113], v[104:105], s[12:13], v[98:99]
	v_fma_f64 v[98:99], v[68:69], s[6:7], v[100:101]
	;; [unrolled: 1-line block ×3, first 2 shown]
	v_add_f64 v[84:85], v[92:93], v[84:85]
	v_fma_f64 v[104:105], v[104:105], s[12:13], v[76:77]
	v_add_f64 v[76:77], v[96:97], v[86:87]
	v_fma_f64 v[80:81], v[80:81], -0.5, v[64:65]
	s_waitcnt lgkmcnt(0)
	v_add_f64 v[92:93], v[54:55], -v[50:51]
	v_fma_f64 v[96:97], v[72:73], s[18:19], v[108:109]
	v_add_f64 v[94:95], v[94:95], v[110:111]
	v_add_f64 v[70:71], v[74:75], -v[70:71]
	v_add_f64 v[74:75], v[82:83], -v[86:87]
	v_fma_f64 v[78:79], v[72:73], s[16:17], v[78:79]
	v_fma_f64 v[72:73], v[72:73], s[14:15], v[98:99]
	;; [unrolled: 1-line block ×3, first 2 shown]
	v_add_f64 v[100:101], v[52:53], v[48:49]
	v_fma_f64 v[82:83], v[92:93], s[6:7], v[80:81]
	v_add_f64 v[86:87], v[62:63], -v[58:59]
	v_add_f64 v[108:109], v[52:53], -v[60:61]
	;; [unrolled: 1-line block ×3, first 2 shown]
	v_add_f64 v[70:71], v[70:71], v[74:75]
	v_fma_f64 v[68:69], v[68:69], s[14:15], v[78:79]
	v_add_f64 v[74:75], v[64:65], v[52:53]
	v_fma_f64 v[80:81], v[92:93], s[16:17], v[80:81]
	v_fma_f64 v[64:65], v[100:101], -0.5, v[64:65]
	v_fma_f64 v[100:101], v[94:95], s[12:13], v[72:73]
	v_add_f64 v[72:73], v[54:55], v[50:51]
	v_fma_f64 v[78:79], v[86:87], s[14:15], v[82:83]
	v_add_f64 v[82:83], v[108:109], v[110:111]
	v_fma_f64 v[108:109], v[94:95], s[12:13], v[96:97]
	v_fma_f64 v[114:115], v[70:71], s[12:13], v[68:69]
	v_add_f64 v[68:69], v[74:75], v[60:61]
	v_fma_f64 v[74:75], v[86:87], s[18:19], v[80:81]
	v_add_f64 v[80:81], v[62:63], v[58:59]
	v_add_f64 v[94:95], v[60:61], -v[52:53]
	v_add_f64 v[96:97], v[56:57], -v[48:49]
	;; [unrolled: 1-line block ×3, first 2 shown]
	v_fma_f64 v[72:73], v[72:73], -0.5, v[66:67]
	v_fma_f64 v[110:111], v[70:71], s[12:13], v[98:99]
	v_fma_f64 v[70:71], v[82:83], s[12:13], v[78:79]
	v_fma_f64 v[78:79], v[86:87], s[16:17], v[64:65]
	v_fma_f64 v[64:65], v[86:87], s[6:7], v[64:65]
	v_fma_f64 v[74:75], v[82:83], s[12:13], v[74:75]
	v_add_f64 v[82:83], v[66:67], v[54:55]
	v_fma_f64 v[66:67], v[80:81], -0.5, v[66:67]
	v_add_f64 v[52:53], v[52:53], -v[48:49]
	v_add_f64 v[80:81], v[94:95], v[96:97]
	v_fma_f64 v[86:87], v[60:61], s[6:7], v[72:73]
	v_add_f64 v[96:97], v[62:63], -v[54:55]
	v_add_f64 v[98:99], v[58:59], -v[50:51]
	;; [unrolled: 1-line block ×3, first 2 shown]
	v_add_f64 v[82:83], v[82:83], v[62:63]
	v_add_f64 v[62:63], v[50:51], -v[58:59]
	v_fma_f64 v[116:117], v[52:53], s[16:17], v[66:67]
	v_add_f64 v[56:57], v[68:69], v[56:57]
	v_fma_f64 v[68:69], v[52:53], s[18:19], v[86:87]
	v_fma_f64 v[66:67], v[52:53], s[6:7], v[66:67]
	v_add_f64 v[86:87], v[96:97], v[98:99]
	v_fma_f64 v[72:73], v[60:61], s[16:17], v[72:73]
	;; [unrolled: 3-line block ×3, first 2 shown]
	v_add_f64 v[62:63], v[56:57], v[48:49]
	v_add_f64 v[48:49], v[82:83], v[58:59]
	v_fma_f64 v[56:57], v[60:61], s[14:15], v[66:67]
	v_fma_f64 v[58:59], v[86:87], s[12:13], v[68:69]
	;; [unrolled: 1-line block ×4, first 2 shown]
	v_mul_f64 v[60:61], v[70:71], s[26:27]
	v_fma_f64 v[66:67], v[54:55], s[12:13], v[116:117]
	v_fma_f64 v[68:69], v[80:81], s[12:13], v[78:79]
	v_add_f64 v[72:73], v[48:49], v[50:51]
	v_fma_f64 v[54:55], v[54:55], s[12:13], v[56:57]
	v_mul_f64 v[50:51], v[58:59], s[6:7]
	v_mul_f64 v[78:79], v[74:75], s[22:23]
	v_fma_f64 v[64:65], v[80:81], s[12:13], v[64:65]
	v_fma_f64 v[52:53], v[86:87], s[12:13], v[52:53]
	;; [unrolled: 1-line block ×3, first 2 shown]
	v_mul_f64 v[70:71], v[70:71], s[18:19]
	ds_read_b128 v[88:91], v0 offset:160
	ds_read_b128 v[24:27], v0 offset:640
	v_mul_f64 v[116:117], v[54:55], s[22:23]
	v_fma_f64 v[82:83], v[68:69], s[12:13], v[50:51]
	v_mul_f64 v[50:51], v[68:69], s[16:17]
	v_fma_f64 v[118:119], v[54:55], s[14:15], v[78:79]
	v_mul_f64 v[56:57], v[64:65], s[24:25]
	v_mul_f64 v[68:69], v[52:53], s[24:25]
	v_add_f64 v[60:61], v[106:107], v[80:81]
	v_fma_f64 v[70:71], v[66:67], s[26:27], v[70:71]
	v_fma_f64 v[116:117], v[74:75], s[18:19], v[116:117]
	v_add_f64 v[66:67], v[76:77], -v[72:73]
	v_fma_f64 v[120:121], v[58:59], s[12:13], v[50:51]
	v_add_f64 v[50:51], v[76:77], v[72:73]
	v_add_f64 v[76:77], v[102:103], v[118:119]
	v_add_f64 v[72:73], v[106:107], -v[80:81]
	s_waitcnt lgkmcnt(0)
	v_add_f64 v[106:107], v[88:89], v[24:25]
	v_add_f64 v[80:81], v[102:103], -v[118:119]
	v_add_f64 v[102:103], v[90:91], v[26:27]
	ds_read_b128 v[92:95], v0 offset:1120
	ds_read_b128 v[96:99], v0 offset:1600
	v_fma_f64 v[86:87], v[52:53], s[6:7], v[56:57]
	v_fma_f64 v[122:123], v[64:65], s[16:17], v[68:69]
	v_add_f64 v[56:57], v[112:113], v[82:83]
	v_add_f64 v[78:79], v[100:101], v[116:117]
	v_add_f64 v[68:69], v[112:113], -v[82:83]
	v_add_f64 v[82:83], v[100:101], -v[116:117]
	s_waitcnt lgkmcnt(1)
	v_add_f64 v[100:101], v[106:107], v[92:93]
	v_add_f64 v[102:103], v[102:103], v[94:95]
	;; [unrolled: 1-line block ×4, first 2 shown]
	v_add_f64 v[64:65], v[84:85], -v[62:63]
	v_add_f64 v[62:63], v[108:109], v[70:71]
	v_add_f64 v[58:59], v[110:111], v[120:121]
	;; [unrolled: 1-line block ×3, first 2 shown]
	v_add_f64 v[84:85], v[104:105], -v[86:87]
	v_add_f64 v[74:75], v[108:109], -v[70:71]
	;; [unrolled: 1-line block ×4, first 2 shown]
	s_waitcnt lgkmcnt(0)
	v_add_f64 v[104:105], v[92:93], v[96:97]
	v_add_f64 v[116:117], v[94:95], -v[98:99]
	v_add_f64 v[106:107], v[24:25], -v[92:93]
	;; [unrolled: 1-line block ×3, first 2 shown]
	v_add_f64 v[110:111], v[94:95], v[98:99]
	v_add_f64 v[118:119], v[92:93], -v[96:97]
	v_add_f64 v[112:113], v[26:27], -v[94:95]
	v_add_f64 v[114:115], v[94:95], -v[26:27]
	ds_read_b128 v[92:95], v0 offset:2080
	v_mul_lo_u16_e32 v3, 10, v170
	v_fma_f64 v[168:169], v[110:111], -0.5, v[90:91]
	s_waitcnt lgkmcnt(0)
	v_add_f64 v[120:121], v[26:27], -v[94:95]
	v_add_f64 v[122:123], v[24:25], v[92:93]
	v_add_f64 v[124:125], v[24:25], -v[92:93]
	v_add_f64 v[126:127], v[26:27], v[94:95]
	v_add_f64 v[24:25], v[100:101], v[96:97]
	;; [unrolled: 1-line block ×3, first 2 shown]
	v_add_f64 v[128:129], v[92:93], -v[96:97]
	v_add_f64 v[130:131], v[96:97], -v[92:93]
	;; [unrolled: 1-line block ×4, first 2 shown]
	v_fma_f64 v[122:123], v[122:123], -0.5, v[88:89]
	v_fma_f64 v[110:111], v[126:127], -0.5, v[90:91]
	v_add_f64 v[136:137], v[24:25], v[92:93]
	v_add_f64 v[138:139], v[26:27], v[94:95]
	ds_read_b128 v[24:27], v0 offset:400
	ds_read_b128 v[92:95], v0 offset:880
	;; [unrolled: 1-line block ×3, first 2 shown]
	v_add_f64 v[132:133], v[112:113], v[132:133]
	v_add_f64 v[112:113], v[114:115], v[134:135]
	;; [unrolled: 1-line block ×3, first 2 shown]
	s_waitcnt lgkmcnt(1)
	v_add_f64 v[100:101], v[24:25], v[92:93]
	s_waitcnt lgkmcnt(0)
	v_add_f64 v[148:149], v[92:93], -v[96:97]
	v_add_f64 v[150:151], v[96:97], -v[92:93]
	;; [unrolled: 1-line block ×4, first 2 shown]
	v_add_f64 v[108:109], v[108:109], v[130:131]
	v_add_f64 v[140:141], v[100:101], v[96:97]
	;; [unrolled: 1-line block ×4, first 2 shown]
	ds_read_b128 v[100:103], v0 offset:1840
	s_waitcnt lgkmcnt(0)
	v_add_f64 v[144:145], v[96:97], v[100:101]
	v_add_f64 v[146:147], v[98:99], -v[102:103]
	v_add_f64 v[152:153], v[98:99], v[102:103]
	v_add_f64 v[154:155], v[96:97], -v[100:101]
	ds_read_b128 v[96:99], v0 offset:2320
	s_waitcnt lgkmcnt(0)
	; wave barrier
	s_waitcnt lgkmcnt(0)
	v_fma_f64 v[126:127], v[144:145], -0.5, v[24:25]
	v_add_f64 v[160:161], v[94:95], -v[98:99]
	v_add_f64 v[162:163], v[92:93], v[96:97]
	v_add_f64 v[164:165], v[92:93], -v[96:97]
	v_add_f64 v[92:93], v[94:95], v[98:99]
	v_add_f64 v[94:95], v[140:141], v[100:101]
	;; [unrolled: 1-line block ×3, first 2 shown]
	v_add_f64 v[142:143], v[96:97], -v[100:101]
	v_fma_f64 v[152:153], v[152:153], -0.5, v[26:27]
	v_add_f64 v[100:101], v[100:101], -v[96:97]
	v_fma_f64 v[144:145], v[162:163], -0.5, v[24:25]
	;; [unrolled: 2-line block ×3, first 2 shown]
	v_add_f64 v[94:95], v[94:95], v[96:97]
	v_fma_f64 v[92:93], v[160:161], s[6:7], v[126:127]
	v_add_f64 v[96:97], v[140:141], v[98:99]
	v_fma_f64 v[140:141], v[104:105], -0.5, v[88:89]
	v_add_f64 v[102:103], v[102:103], -v[98:99]
	v_add_f64 v[114:115], v[150:151], v[100:101]
	v_fma_f64 v[100:101], v[154:155], s[6:7], v[162:163]
	v_add_f64 v[24:25], v[136:137], v[94:95]
	v_add_f64 v[88:89], v[136:137], -v[94:95]
	v_add_f64 v[136:137], v[148:149], v[142:143]
	v_fma_f64 v[92:93], v[146:147], s[14:15], v[92:93]
	v_fma_f64 v[94:95], v[164:165], s[16:17], v[152:153]
	v_add_f64 v[26:27], v[138:139], v[96:97]
	v_add_f64 v[90:91], v[138:139], -v[96:97]
	v_add_f64 v[138:139], v[156:157], v[166:167]
	v_add_f64 v[130:131], v[158:159], v[102:103]
	v_fma_f64 v[100:101], v[164:165], s[18:19], v[100:101]
	v_fma_f64 v[102:103], v[146:147], s[16:17], v[144:145]
	;; [unrolled: 1-line block ×4, first 2 shown]
	v_lshl_add_u32 v156, v3, 4, v2
	ds_write_b128 v156, v[4:7]
	ds_write_b128 v156, v[16:19] offset:16
	v_add_u32_e32 v3, 10, v170
	ds_write_b128 v156, v[8:11] offset:32
	ds_write_b128 v156, v[20:23] offset:48
	;; [unrolled: 1-line block ×8, first 2 shown]
	v_fma_f64 v[100:101], v[130:131], s[12:13], v[100:101]
	v_fma_f64 v[102:103], v[160:161], s[14:15], v[102:103]
	v_mul_f64 v[96:97], v[92:93], s[26:27]
	v_fma_f64 v[94:95], v[138:139], s[12:13], v[94:95]
	v_mul_f64 v[92:93], v[92:93], s[18:19]
	v_fma_f64 v[102:103], v[114:115], s[12:13], v[102:103]
	v_fma_f64 v[96:97], v[94:95], s[14:15], v[96:97]
	;; [unrolled: 1-line block ×9, first 2 shown]
	v_add_f64 v[92:93], v[104:105], v[96:97]
	v_add_f64 v[96:97], v[104:105], -v[96:97]
	v_mul_f64 v[104:105], v[100:101], s[6:7]
	v_add_f64 v[94:95], v[106:107], v[98:99]
	v_add_f64 v[98:99], v[106:107], -v[98:99]
	v_fma_f64 v[104:105], v[102:103], s[12:13], v[104:105]
	v_mul_f64 v[102:103], v[102:103], s[16:17]
	v_fma_f64 v[106:107], v[100:101], s[12:13], v[102:103]
	v_fma_f64 v[100:101], v[116:117], s[16:17], v[122:123]
	;; [unrolled: 1-line block ×14, first 2 shown]
	v_add_f64 v[100:101], v[134:135], v[104:105]
	v_add_f64 v[104:105], v[134:135], -v[104:105]
	v_fma_f64 v[108:109], v[124:125], s[14:15], v[108:109]
	v_fma_f64 v[110:111], v[164:165], s[14:15], v[110:111]
	;; [unrolled: 1-line block ×3, first 2 shown]
	v_add_f64 v[102:103], v[142:143], v[106:107]
	v_add_f64 v[106:107], v[142:143], -v[106:107]
	v_fma_f64 v[134:135], v[112:113], s[12:13], v[108:109]
	v_fma_f64 v[108:109], v[146:147], s[6:7], v[144:145]
	;; [unrolled: 1-line block ×7, first 2 shown]
	v_mul_f64 v[112:113], v[108:109], s[24:25]
	v_fma_f64 v[112:113], v[110:111], s[6:7], v[112:113]
	v_mul_f64 v[110:111], v[110:111], s[24:25]
	v_fma_f64 v[114:115], v[108:109], s[16:17], v[110:111]
	v_add_f64 v[108:109], v[122:123], v[112:113]
	v_add_f64 v[112:113], v[122:123], -v[112:113]
	v_fma_f64 v[122:123], v[160:161], s[16:17], v[126:127]
	v_fma_f64 v[126:127], v[164:165], s[6:7], v[152:153]
	v_add_u32_e32 v152, 5, v170
	v_mul_u32_u24_e32 v4, 10, v152
	v_lshl_add_u32 v157, v4, 4, v2
	v_add_f64 v[110:111], v[134:135], v[114:115]
	v_mul_u32_u24_e32 v4, 10, v3
	v_lshl_add_u32 v158, v4, 4, v2
	v_fma_f64 v[122:123], v[146:147], s[18:19], v[122:123]
	v_fma_f64 v[120:121], v[154:155], s[14:15], v[126:127]
	;; [unrolled: 1-line block ×3, first 2 shown]
	v_lshlrev_b32_e32 v4, 6, v170
	v_add_f64 v[114:115], v[134:135], -v[114:115]
	ds_write_b128 v157, v[48:51]
	ds_write_b128 v157, v[60:63] offset:16
	ds_write_b128 v157, v[56:59] offset:32
	;; [unrolled: 1-line block ×9, first 2 shown]
	v_add_co_u32_e32 v153, vcc, 20, v170
	v_fma_f64 v[122:123], v[136:137], s[12:13], v[122:123]
	v_fma_f64 v[116:117], v[138:139], s[12:13], v[120:121]
	v_mul_lo_u16_sdwa v34, v153, s28 dst_sel:DWORD dst_unused:UNUSED_PAD src0_sel:BYTE_0 src1_sel:DWORD
	v_lshrrev_b16_e32 v34, 11, v34
	v_mul_lo_u16_e32 v34, 10, v34
	v_sub_u16_e32 v155, v153, v34
	v_lshlrev_b16_e32 v34, 2, v155
	v_and_b32_e32 v34, 0xfc, v34
	v_mul_f64 v[118:119], v[122:123], s[22:23]
	v_lshlrev_b32_e32 v78, 4, v34
	v_add_co_u32_e32 v154, vcc, 25, v170
	v_fma_f64 v[120:121], v[116:117], s[14:15], v[118:119]
	v_mul_f64 v[116:117], v[116:117], s[22:23]
	v_fma_f64 v[122:123], v[122:123], s[18:19], v[116:117]
	v_add_f64 v[116:117], v[124:125], v[120:121]
	v_add_f64 v[120:121], v[124:125], -v[120:121]
	v_add_f64 v[118:119], v[126:127], v[122:123]
	v_add_f64 v[122:123], v[126:127], -v[122:123]
	ds_write_b128 v158, v[24:27]
	ds_write_b128 v158, v[92:95] offset:16
	ds_write_b128 v158, v[100:103] offset:32
	ds_write_b128 v158, v[108:111] offset:48
	ds_write_b128 v158, v[116:119] offset:64
	ds_write_b128 v158, v[88:91] offset:80
	ds_write_b128 v158, v[96:99] offset:96
	ds_write_b128 v158, v[104:107] offset:112
	ds_write_b128 v158, v[112:115] offset:128
	ds_write_b128 v158, v[120:123] offset:144
	s_waitcnt lgkmcnt(0)
	; wave barrier
	s_waitcnt lgkmcnt(0)
	global_load_dwordx4 v[144:147], v4, s[10:11]
	global_load_dwordx4 v[132:135], v4, s[10:11] offset:16
	global_load_dwordx4 v[124:127], v4, s[10:11] offset:32
	global_load_dwordx4 v[120:123], v4, s[10:11] offset:48
	v_lshlrev_b32_e32 v4, 6, v152
	global_load_dwordx4 v[148:151], v4, s[10:11]
	global_load_dwordx4 v[140:143], v4, s[10:11] offset:16
	global_load_dwordx4 v[136:139], v4, s[10:11] offset:32
	;; [unrolled: 1-line block ×3, first 2 shown]
	ds_read_b128 v[4:7], v0 offset:480
	ds_read_b128 v[8:11], v0 offset:960
	;; [unrolled: 1-line block ×13, first 2 shown]
	global_load_dwordx4 v[79:82], v78, s[10:11]
	ds_read_b128 v[74:77], v0 offset:1200
	s_waitcnt vmcnt(8) lgkmcnt(13)
	v_mul_f64 v[30:31], v[4:5], v[146:147]
	s_waitcnt vmcnt(7) lgkmcnt(12)
	v_mul_f64 v[32:33], v[10:11], v[134:135]
	v_mul_f64 v[34:35], v[8:9], v[134:135]
	v_mul_f64 v[28:29], v[6:7], v[146:147]
	s_waitcnt vmcnt(6) lgkmcnt(11)
	v_mul_f64 v[46:47], v[12:13], v[126:127]
	v_mul_f64 v[40:41], v[14:15], v[126:127]
	v_fma_f64 v[161:162], v[6:7], v[144:145], v[30:31]
	v_fma_f64 v[164:165], v[8:9], v[132:133], -v[32:33]
	s_waitcnt vmcnt(5) lgkmcnt(10)
	v_mul_f64 v[6:7], v[16:17], v[122:123]
	v_fma_f64 v[166:167], v[10:11], v[132:133], v[34:35]
	s_waitcnt vmcnt(4) lgkmcnt(9)
	v_mul_f64 v[8:9], v[22:23], v[150:151]
	v_mul_f64 v[10:11], v[20:21], v[150:151]
	v_fma_f64 v[159:160], v[4:5], v[144:145], -v[28:29]
	v_mul_f64 v[4:5], v[18:19], v[122:123]
	v_fma_f64 v[14:15], v[14:15], v[124:125], v[46:47]
	s_waitcnt vmcnt(3) lgkmcnt(8)
	v_mul_f64 v[30:31], v[26:27], v[142:143]
	v_fma_f64 v[18:19], v[18:19], v[120:121], v[6:7]
	s_waitcnt vmcnt(2) lgkmcnt(7)
	v_mul_f64 v[6:7], v[38:39], v[138:139]
	v_mul_f64 v[46:47], v[36:37], v[138:139]
	v_fma_f64 v[28:29], v[20:21], v[148:149], -v[8:9]
	v_fma_f64 v[32:33], v[22:23], v[148:149], v[10:11]
	s_waitcnt vmcnt(1) lgkmcnt(6)
	v_mul_f64 v[8:9], v[44:45], v[130:131]
	v_mul_f64 v[10:11], v[42:43], v[130:131]
	v_fma_f64 v[16:17], v[16:17], v[120:121], -v[4:5]
	v_mul_f64 v[4:5], v[24:25], v[142:143]
	v_fma_f64 v[12:13], v[12:13], v[124:125], -v[40:41]
	v_fma_f64 v[40:41], v[24:25], v[140:141], -v[30:31]
	;; [unrolled: 1-line block ×3, first 2 shown]
	v_fma_f64 v[36:37], v[38:39], v[136:137], v[46:47]
	s_waitcnt lgkmcnt(5)
	v_mul_f64 v[6:7], v[48:49], v[146:147]
	s_waitcnt lgkmcnt(4)
	v_mul_f64 v[20:21], v[56:57], v[134:135]
	v_fma_f64 v[42:43], v[42:43], v[128:129], -v[8:9]
	v_fma_f64 v[38:39], v[44:45], v[128:129], v[10:11]
	v_mul_f64 v[8:9], v[54:55], v[134:135]
	s_waitcnt lgkmcnt(3)
	v_mul_f64 v[10:11], v[64:65], v[126:127]
	v_fma_f64 v[34:35], v[26:27], v[140:141], v[4:5]
	v_mul_f64 v[4:5], v[50:51], v[146:147]
	v_fma_f64 v[52:53], v[50:51], v[144:145], v[6:7]
	v_fma_f64 v[60:61], v[54:55], v[132:133], -v[20:21]
	s_waitcnt lgkmcnt(2)
	v_mul_f64 v[24:25], v[66:67], v[122:123]
	v_mul_f64 v[20:21], v[68:69], v[122:123]
	v_fma_f64 v[54:55], v[56:57], v[132:133], v[8:9]
	v_fma_f64 v[50:51], v[62:63], v[124:125], -v[10:11]
	s_waitcnt lgkmcnt(1)
	v_mul_f64 v[8:9], v[72:73], v[150:151]
	v_mul_f64 v[10:11], v[70:71], v[150:151]
	v_fma_f64 v[48:49], v[48:49], v[144:145], -v[4:5]
	ds_read_b128 v[4:7], v0 offset:1680
	v_fma_f64 v[58:59], v[68:69], v[120:121], v[24:25]
	v_mul_f64 v[22:23], v[62:63], v[126:127]
	v_fma_f64 v[62:63], v[66:67], v[120:121], -v[20:21]
	v_add_f64 v[44:45], v[166:167], v[14:15]
	v_fma_f64 v[68:69], v[70:71], v[148:149], -v[8:9]
	v_fma_f64 v[104:105], v[72:73], v[148:149], v[10:11]
	ds_read_b128 v[8:11], v0 offset:2160
	s_waitcnt lgkmcnt(1)
	v_mul_f64 v[24:25], v[6:7], v[138:139]
	v_mul_f64 v[26:27], v[4:5], v[138:139]
	v_fma_f64 v[56:57], v[64:65], v[124:125], v[22:23]
	v_add_f64 v[46:47], v[159:160], -v[16:17]
	v_add_f64 v[66:67], v[164:165], -v[12:13]
	;; [unrolled: 1-line block ×3, first 2 shown]
	v_fma_f64 v[70:71], v[4:5], v[136:137], -v[24:25]
	v_fma_f64 v[108:109], v[6:7], v[136:137], v[26:27]
	s_waitcnt lgkmcnt(0)
	v_mul_f64 v[4:5], v[10:11], v[130:131]
	v_mul_f64 v[6:7], v[8:9], v[130:131]
	v_add_f64 v[26:27], v[166:167], -v[14:15]
	v_fma_f64 v[114:115], v[8:9], v[128:129], -v[4:5]
	v_fma_f64 v[110:111], v[10:11], v[128:129], v[6:7]
	ds_read_b128 v[4:7], v0 offset:800
	v_mul_f64 v[20:21], v[76:77], v[142:143]
	v_mul_f64 v[22:23], v[74:75], v[142:143]
	s_waitcnt vmcnt(0)
	buffer_store_dword v79, off, s[36:39], 0 offset:496 ; 4-byte Folded Spill
	s_nop 0
	buffer_store_dword v80, off, s[36:39], 0 offset:500 ; 4-byte Folded Spill
	buffer_store_dword v81, off, s[36:39], 0 offset:504 ; 4-byte Folded Spill
	;; [unrolled: 1-line block ×3, first 2 shown]
	v_fma_f64 v[112:113], v[74:75], v[140:141], -v[20:21]
	v_fma_f64 v[106:107], v[76:77], v[140:141], v[22:23]
	global_load_dwordx4 v[20:23], v78, s[10:11] offset:16
	s_waitcnt vmcnt(0)
	buffer_store_dword v20, off, s[36:39], 0 offset:512 ; 4-byte Folded Spill
	s_nop 0
	buffer_store_dword v21, off, s[36:39], 0 offset:516 ; 4-byte Folded Spill
	buffer_store_dword v22, off, s[36:39], 0 offset:520 ; 4-byte Folded Spill
	;; [unrolled: 1-line block ×3, first 2 shown]
	s_waitcnt lgkmcnt(0)
	v_mul_f64 v[8:9], v[6:7], v[81:82]
	v_add_f64 v[174:175], v[112:113], -v[70:71]
	v_fma_f64 v[94:95], v[4:5], v[79:80], -v[8:9]
	v_mul_f64 v[4:5], v[4:5], v[81:82]
	v_fma_f64 v[88:89], v[6:7], v[79:80], v[4:5]
	ds_read_b128 v[4:7], v0 offset:1280
	s_waitcnt lgkmcnt(0)
	v_mul_f64 v[8:9], v[6:7], v[22:23]
	v_fma_f64 v[98:99], v[4:5], v[20:21], -v[8:9]
	v_mul_f64 v[4:5], v[4:5], v[22:23]
	v_fma_f64 v[90:91], v[6:7], v[20:21], v[4:5]
	global_load_dwordx4 v[20:23], v78, s[10:11] offset:32
	s_waitcnt vmcnt(0)
	buffer_store_dword v20, off, s[36:39], 0 offset:528 ; 4-byte Folded Spill
	s_nop 0
	buffer_store_dword v21, off, s[36:39], 0 offset:532 ; 4-byte Folded Spill
	buffer_store_dword v22, off, s[36:39], 0 offset:536 ; 4-byte Folded Spill
	;; [unrolled: 1-line block ×3, first 2 shown]
	ds_read_b128 v[4:7], v0 offset:1760
	s_waitcnt lgkmcnt(0)
	v_mul_f64 v[8:9], v[6:7], v[22:23]
	v_fma_f64 v[100:101], v[4:5], v[20:21], -v[8:9]
	v_mul_f64 v[4:5], v[4:5], v[22:23]
	v_add_f64 v[192:193], v[98:99], -v[100:101]
	v_fma_f64 v[92:93], v[6:7], v[20:21], v[4:5]
	global_load_dwordx4 v[20:23], v78, s[10:11] offset:48
	s_waitcnt vmcnt(0)
	buffer_store_dword v20, off, s[36:39], 0 offset:544 ; 4-byte Folded Spill
	s_nop 0
	buffer_store_dword v21, off, s[36:39], 0 offset:548 ; 4-byte Folded Spill
	buffer_store_dword v22, off, s[36:39], 0 offset:552 ; 4-byte Folded Spill
	;; [unrolled: 1-line block ×3, first 2 shown]
	ds_read_b128 v[4:7], v0 offset:2240
	s_waitcnt lgkmcnt(0)
	v_mul_f64 v[8:9], v[6:7], v[22:23]
	v_fma_f64 v[102:103], v[4:5], v[20:21], -v[8:9]
	v_mul_f64 v[4:5], v[4:5], v[22:23]
	v_add_f64 v[190:191], v[94:95], -v[102:103]
	v_fma_f64 v[96:97], v[6:7], v[20:21], v[4:5]
	v_mul_lo_u16_sdwa v4, v154, s28 dst_sel:DWORD dst_unused:UNUSED_PAD src0_sel:BYTE_0 src1_sel:DWORD
	v_lshrrev_b16_e32 v4, 11, v4
	v_mul_lo_u16_e32 v4, 10, v4
	v_sub_u16_e32 v163, v154, v4
	v_lshlrev_b16_e32 v4, 2, v163
	v_and_b32_e32 v4, 0xfc, v4
	v_lshlrev_b32_e32 v10, 4, v4
	global_load_dwordx4 v[20:23], v10, s[10:11]
	s_waitcnt vmcnt(0)
	buffer_store_dword v20, off, s[36:39], 0 offset:560 ; 4-byte Folded Spill
	s_nop 0
	buffer_store_dword v21, off, s[36:39], 0 offset:564 ; 4-byte Folded Spill
	buffer_store_dword v22, off, s[36:39], 0 offset:568 ; 4-byte Folded Spill
	;; [unrolled: 1-line block ×3, first 2 shown]
	global_load_dwordx4 v[176:179], v10, s[10:11] offset:16
	global_load_dwordx4 v[180:183], v10, s[10:11] offset:32
	;; [unrolled: 1-line block ×3, first 2 shown]
	ds_read_b128 v[4:7], v0 offset:880
	s_mov_b32 s28, 0xe8584caa
	s_mov_b32 s29, 0x3febb67a
	s_waitcnt lgkmcnt(0)
	v_mul_f64 v[8:9], v[6:7], v[22:23]
	v_fma_f64 v[80:81], v[4:5], v[20:21], -v[8:9]
	v_mul_f64 v[4:5], v[4:5], v[22:23]
	v_add_f64 v[22:23], v[161:162], -v[18:19]
	v_fma_f64 v[72:73], v[6:7], v[20:21], v[4:5]
	ds_read_b128 v[4:7], v0 offset:1360
	v_add_f64 v[20:21], v[164:165], v[12:13]
	s_waitcnt vmcnt(2) lgkmcnt(0)
	v_mul_f64 v[8:9], v[6:7], v[178:179]
	v_fma_f64 v[82:83], v[4:5], v[176:177], -v[8:9]
	v_mul_f64 v[4:5], v[4:5], v[178:179]
	v_fma_f64 v[74:75], v[6:7], v[176:177], v[4:5]
	ds_read_b128 v[4:7], v0 offset:1840
	s_waitcnt vmcnt(1) lgkmcnt(0)
	v_mul_f64 v[8:9], v[6:7], v[182:183]
	v_fma_f64 v[84:85], v[4:5], v[180:181], -v[8:9]
	v_mul_f64 v[4:5], v[4:5], v[182:183]
	v_add_f64 v[198:199], v[82:83], -v[84:85]
	v_fma_f64 v[76:77], v[6:7], v[180:181], v[4:5]
	ds_read_b128 v[4:7], v0 offset:2320
	s_waitcnt vmcnt(0) lgkmcnt(0)
	v_mul_f64 v[8:9], v[6:7], v[186:187]
	v_fma_f64 v[86:87], v[4:5], v[184:185], -v[8:9]
	v_mul_f64 v[4:5], v[4:5], v[186:187]
	v_add_f64 v[8:9], v[18:19], -v[14:15]
	v_add_f64 v[196:197], v[80:81], -v[86:87]
	v_fma_f64 v[78:79], v[6:7], v[184:185], v[4:5]
	v_add_f64 v[4:5], v[159:160], -v[164:165]
	v_add_f64 v[6:7], v[16:17], -v[12:13]
	v_add_f64 v[4:5], v[4:5], v[6:7]
	v_add_f64 v[6:7], v[161:162], -v[166:167]
	v_add_f64 v[6:7], v[6:7], v[8:9]
	ds_read_b128 v[8:11], v0
	s_waitcnt lgkmcnt(0)
	v_fma_f64 v[20:21], v[20:21], -0.5, v[8:9]
	v_fma_f64 v[44:45], v[44:45], -0.5, v[10:11]
	v_fma_f64 v[24:25], v[22:23], s[6:7], v[20:21]
	v_fma_f64 v[64:65], v[46:47], s[16:17], v[44:45]
	;; [unrolled: 1-line block ×10, first 2 shown]
	v_add_f64 v[20:21], v[159:160], v[16:17]
	v_add_f64 v[44:45], v[164:165], -v[159:160]
	v_fma_f64 v[24:25], v[66:67], s[14:15], v[24:25]
	v_fma_f64 v[20:21], v[20:21], -0.5, v[8:9]
	v_add_f64 v[8:9], v[8:9], v[159:160]
	v_add_f64 v[159:160], v[34:35], -v[36:37]
	v_fma_f64 v[6:7], v[6:7], s[12:13], v[24:25]
	v_add_f64 v[24:25], v[161:162], v[18:19]
	v_fma_f64 v[64:65], v[26:27], s[16:17], v[20:21]
	v_add_f64 v[8:9], v[8:9], v[164:165]
	v_fma_f64 v[20:21], v[26:27], s[6:7], v[20:21]
	v_add_f64 v[164:165], v[28:29], -v[42:43]
	v_fma_f64 v[24:25], v[24:25], -0.5, v[10:11]
	v_add_f64 v[10:11], v[10:11], v[161:162]
	v_fma_f64 v[26:27], v[22:23], s[14:15], v[64:65]
	v_add_f64 v[8:9], v[8:9], v[12:13]
	v_add_f64 v[12:13], v[12:13], -v[16:17]
	v_fma_f64 v[20:21], v[22:23], s[18:19], v[20:21]
	v_add_f64 v[10:11], v[10:11], v[166:167]
	v_add_f64 v[8:9], v[8:9], v[16:17]
	v_add_f64 v[16:17], v[166:167], -v[161:162]
	v_add_f64 v[12:13], v[44:45], v[12:13]
	v_add_f64 v[166:167], v[40:41], -v[30:31]
	;; [unrolled: 2-line block ×3, first 2 shown]
	v_add_f64 v[10:11], v[10:11], v[18:19]
	v_fma_f64 v[18:19], v[66:67], s[6:7], v[24:25]
	v_fma_f64 v[24:25], v[66:67], s[16:17], v[24:25]
	v_add_f64 v[14:15], v[16:17], v[14:15]
	v_fma_f64 v[16:17], v[12:13], s[12:13], v[26:27]
	v_fma_f64 v[12:13], v[12:13], s[12:13], v[20:21]
	v_add_f64 v[20:21], v[28:29], -v[40:41]
	v_add_f64 v[66:67], v[32:33], -v[38:39]
	v_fma_f64 v[18:19], v[46:47], s[18:19], v[18:19]
	v_fma_f64 v[22:23], v[46:47], s[14:15], v[24:25]
	ds_read_b128 v[44:47], v0 offset:80
	v_fma_f64 v[18:19], v[14:15], s[12:13], v[18:19]
	v_fma_f64 v[14:15], v[14:15], s[12:13], v[22:23]
	v_add_f64 v[22:23], v[42:43], -v[30:31]
	v_add_f64 v[24:25], v[20:21], v[22:23]
	v_add_f64 v[20:21], v[32:33], -v[34:35]
	v_add_f64 v[22:23], v[38:39], -v[36:37]
	v_add_f64 v[26:27], v[20:21], v[22:23]
	v_add_f64 v[20:21], v[40:41], v[30:31]
	;; [unrolled: 1-line block ×3, first 2 shown]
	s_waitcnt lgkmcnt(0)
	v_fma_f64 v[64:65], v[20:21], -0.5, v[44:45]
	v_fma_f64 v[161:162], v[22:23], -0.5, v[46:47]
	v_fma_f64 v[20:21], v[66:67], s[6:7], v[64:65]
	v_fma_f64 v[22:23], v[164:165], s[16:17], v[161:162]
	;; [unrolled: 1-line block ×12, first 2 shown]
	v_add_f64 v[64:65], v[28:29], v[42:43]
	v_add_f64 v[161:162], v[32:33], v[38:39]
	v_fma_f64 v[64:65], v[64:65], -0.5, v[44:45]
	v_fma_f64 v[161:162], v[161:162], -0.5, v[46:47]
	v_add_f64 v[44:45], v[44:45], v[28:29]
	v_add_f64 v[46:47], v[46:47], v[32:33]
	v_add_f64 v[32:33], v[34:35], -v[32:33]
	v_fma_f64 v[168:169], v[159:160], s[16:17], v[64:65]
	v_fma_f64 v[64:65], v[159:160], s[6:7], v[64:65]
	v_add_f64 v[44:45], v[44:45], v[40:41]
	v_add_f64 v[40:41], v[40:41], -v[28:29]
	v_add_f64 v[28:29], v[46:47], v[34:35]
	v_add_f64 v[159:160], v[30:31], -v[42:43]
	v_add_f64 v[34:35], v[36:37], -v[38:39]
	v_add_f64 v[44:45], v[44:45], v[30:31]
	v_add_f64 v[46:47], v[28:29], v[36:37]
	v_fma_f64 v[36:37], v[166:167], s[6:7], v[161:162]
	v_add_f64 v[40:41], v[40:41], v[159:160]
	v_add_f64 v[34:35], v[32:33], v[34:35]
	;; [unrolled: 1-line block ×3, first 2 shown]
	v_fma_f64 v[42:43], v[66:67], s[14:15], v[168:169]
	v_add_f64 v[30:31], v[46:47], v[38:39]
	v_fma_f64 v[38:39], v[166:167], s[16:17], v[161:162]
	v_fma_f64 v[44:45], v[66:67], s[18:19], v[64:65]
	;; [unrolled: 1-line block ×3, first 2 shown]
	ds_read_b128 v[64:67], v0 offset:160
	v_add_f64 v[161:162], v[52:53], -v[58:59]
	v_add_f64 v[168:169], v[48:49], -v[62:63]
	v_fma_f64 v[36:37], v[40:41], s[12:13], v[42:43]
	v_add_f64 v[42:43], v[62:63], -v[50:51]
	v_fma_f64 v[46:47], v[164:165], s[14:15], v[38:39]
	;; [unrolled: 2-line block ×3, first 2 shown]
	v_fma_f64 v[32:33], v[40:41], s[12:13], v[44:45]
	v_add_f64 v[40:41], v[48:49], -v[60:61]
	v_fma_f64 v[34:35], v[34:35], s[12:13], v[46:47]
	v_add_f64 v[44:45], v[40:41], v[42:43]
	v_add_f64 v[40:41], v[52:53], -v[54:55]
	v_add_f64 v[42:43], v[58:59], -v[56:57]
	v_add_f64 v[46:47], v[40:41], v[42:43]
	v_add_f64 v[40:41], v[60:61], v[50:51]
	;; [unrolled: 1-line block ×3, first 2 shown]
	s_waitcnt lgkmcnt(0)
	v_fma_f64 v[159:160], v[40:41], -0.5, v[64:65]
	v_fma_f64 v[166:167], v[42:43], -0.5, v[66:67]
	v_fma_f64 v[40:41], v[161:162], s[6:7], v[159:160]
	v_fma_f64 v[42:43], v[168:169], s[16:17], v[166:167]
	;; [unrolled: 1-line block ×12, first 2 shown]
	v_add_f64 v[159:160], v[48:49], v[62:63]
	v_add_f64 v[166:167], v[52:53], v[58:59]
	v_fma_f64 v[159:160], v[159:160], -0.5, v[64:65]
	v_fma_f64 v[166:167], v[166:167], -0.5, v[66:67]
	v_add_f64 v[64:65], v[64:65], v[48:49]
	v_add_f64 v[66:67], v[66:67], v[52:53]
	v_add_f64 v[52:53], v[54:55], -v[52:53]
	v_fma_f64 v[172:173], v[164:165], s[16:17], v[159:160]
	v_fma_f64 v[159:160], v[164:165], s[6:7], v[159:160]
	v_add_f64 v[64:65], v[64:65], v[60:61]
	v_add_f64 v[60:61], v[60:61], -v[48:49]
	v_add_f64 v[48:49], v[66:67], v[54:55]
	v_add_f64 v[164:165], v[50:51], -v[62:63]
	v_add_f64 v[54:55], v[56:57], -v[58:59]
	v_add_f64 v[64:65], v[64:65], v[50:51]
	v_add_f64 v[66:67], v[48:49], v[56:57]
	v_fma_f64 v[56:57], v[170:171], s[6:7], v[166:167]
	v_add_f64 v[60:61], v[60:61], v[164:165]
	v_add_f64 v[54:55], v[52:53], v[54:55]
	;; [unrolled: 1-line block ×3, first 2 shown]
	v_fma_f64 v[62:63], v[161:162], s[14:15], v[172:173]
	v_add_f64 v[50:51], v[66:67], v[58:59]
	v_fma_f64 v[58:59], v[170:171], s[16:17], v[166:167]
	v_fma_f64 v[64:65], v[161:162], s[18:19], v[159:160]
	;; [unrolled: 1-line block ×3, first 2 shown]
	ds_read_b128 v[159:162], v0 offset:240
	v_add_f64 v[166:167], v[104:105], -v[110:111]
	v_add_f64 v[172:173], v[68:69], -v[114:115]
	v_fma_f64 v[56:57], v[60:61], s[12:13], v[62:63]
	v_add_f64 v[62:63], v[114:115], -v[70:71]
	v_fma_f64 v[66:67], v[168:169], s[14:15], v[58:59]
	v_add_f64 v[168:169], v[106:107], -v[108:109]
	v_fma_f64 v[58:59], v[54:55], s[12:13], v[52:53]
	v_fma_f64 v[52:53], v[60:61], s[12:13], v[64:65]
	v_add_f64 v[60:61], v[68:69], -v[112:113]
	v_fma_f64 v[54:55], v[54:55], s[12:13], v[66:67]
	v_add_f64 v[64:65], v[60:61], v[62:63]
	v_add_f64 v[60:61], v[104:105], -v[106:107]
	v_add_f64 v[62:63], v[110:111], -v[108:109]
	v_add_f64 v[66:67], v[60:61], v[62:63]
	v_add_f64 v[60:61], v[112:113], v[70:71]
	;; [unrolled: 1-line block ×3, first 2 shown]
	s_waitcnt lgkmcnt(0)
	v_fma_f64 v[164:165], v[60:61], -0.5, v[159:160]
	v_fma_f64 v[170:171], v[62:63], -0.5, v[161:162]
	v_fma_f64 v[60:61], v[166:167], s[6:7], v[164:165]
	v_fma_f64 v[164:165], v[166:167], s[16:17], v[164:165]
	;; [unrolled: 1-line block ×10, first 2 shown]
	v_add_f64 v[164:165], v[68:69], v[114:115]
	v_fma_f64 v[62:63], v[66:67], s[12:13], v[62:63]
	v_fma_f64 v[66:67], v[66:67], s[12:13], v[170:171]
	v_add_f64 v[170:171], v[104:105], v[110:111]
	v_fma_f64 v[164:165], v[164:165], -0.5, v[159:160]
	v_add_f64 v[159:160], v[159:160], v[68:69]
	v_fma_f64 v[170:171], v[170:171], -0.5, v[161:162]
	v_add_f64 v[161:162], v[161:162], v[104:105]
	v_add_f64 v[104:105], v[106:107], -v[104:105]
	v_fma_f64 v[188:189], v[168:169], s[16:17], v[164:165]
	v_add_f64 v[159:160], v[159:160], v[112:113]
	v_add_f64 v[112:113], v[112:113], -v[68:69]
	v_fma_f64 v[164:165], v[168:169], s[6:7], v[164:165]
	v_add_f64 v[68:69], v[161:162], v[106:107]
	v_add_f64 v[168:169], v[70:71], -v[114:115]
	v_add_f64 v[106:107], v[108:109], -v[110:111]
	v_add_f64 v[159:160], v[159:160], v[70:71]
	v_add_f64 v[161:162], v[68:69], v[108:109]
	v_fma_f64 v[108:109], v[174:175], s[6:7], v[170:171]
	v_add_f64 v[112:113], v[112:113], v[168:169]
	v_add_f64 v[168:169], v[90:91], v[92:93]
	;; [unrolled: 1-line block ×3, first 2 shown]
	v_fma_f64 v[114:115], v[166:167], s[14:15], v[188:189]
	v_fma_f64 v[159:160], v[166:167], s[18:19], v[164:165]
	v_add_f64 v[70:71], v[161:162], v[110:111]
	v_fma_f64 v[110:111], v[174:175], s[16:17], v[170:171]
	v_add_f64 v[161:162], v[104:105], v[106:107]
	;; [unrolled: 2-line block ×3, first 2 shown]
	v_add_f64 v[174:175], v[88:89], -v[96:97]
	v_fma_f64 v[104:105], v[112:113], s[12:13], v[114:115]
	v_fma_f64 v[108:109], v[112:113], s[12:13], v[159:160]
	v_add_f64 v[112:113], v[94:95], -v[98:99]
	v_add_f64 v[114:115], v[102:103], -v[100:101]
	v_fma_f64 v[110:111], v[172:173], s[14:15], v[110:111]
	v_fma_f64 v[106:107], v[161:162], s[12:13], v[106:107]
	v_add_f64 v[188:189], v[90:91], -v[92:93]
	v_add_f64 v[159:160], v[112:113], v[114:115]
	v_add_f64 v[112:113], v[88:89], -v[90:91]
	v_add_f64 v[114:115], v[96:97], -v[92:93]
	v_fma_f64 v[110:111], v[161:162], s[12:13], v[110:111]
	v_add_f64 v[161:162], v[112:113], v[114:115]
	ds_read_b128 v[112:115], v0 offset:320
	s_waitcnt lgkmcnt(0)
	v_fma_f64 v[164:165], v[164:165], -0.5, v[112:113]
	v_fma_f64 v[170:171], v[168:169], -0.5, v[114:115]
	v_fma_f64 v[166:167], v[174:175], s[6:7], v[164:165]
	v_fma_f64 v[168:169], v[190:191], s[16:17], v[170:171]
	;; [unrolled: 1-line block ×12, first 2 shown]
	v_add_f64 v[159:160], v[94:95], v[102:103]
	v_add_f64 v[161:162], v[88:89], v[96:97]
	v_fma_f64 v[159:160], v[159:160], -0.5, v[112:113]
	v_fma_f64 v[161:162], v[161:162], -0.5, v[114:115]
	v_add_f64 v[112:113], v[112:113], v[94:95]
	v_add_f64 v[114:115], v[114:115], v[88:89]
	v_add_f64 v[94:95], v[98:99], -v[94:95]
	v_add_f64 v[88:89], v[90:91], -v[88:89]
	v_fma_f64 v[164:165], v[188:189], s[16:17], v[159:160]
	v_fma_f64 v[159:160], v[188:189], s[6:7], v[159:160]
	v_add_f64 v[112:113], v[112:113], v[98:99]
	v_add_f64 v[98:99], v[114:115], v[90:91]
	v_add_f64 v[188:189], v[100:101], -v[102:103]
	v_add_f64 v[90:91], v[92:93], -v[96:97]
	v_add_f64 v[112:113], v[112:113], v[100:101]
	v_add_f64 v[114:115], v[98:99], v[92:93]
	v_fma_f64 v[92:93], v[192:193], s[6:7], v[161:162]
	v_add_f64 v[94:95], v[94:95], v[188:189]
	v_add_f64 v[188:189], v[74:75], v[76:77]
	;; [unrolled: 1-line block ×4, first 2 shown]
	v_fma_f64 v[96:97], v[192:193], s[16:17], v[161:162]
	v_fma_f64 v[102:103], v[174:175], s[14:15], v[164:165]
	;; [unrolled: 1-line block ×3, first 2 shown]
	v_add_f64 v[114:115], v[88:89], v[90:91]
	v_fma_f64 v[90:91], v[190:191], s[18:19], v[92:93]
	v_add_f64 v[159:160], v[82:83], v[84:85]
	v_add_f64 v[161:162], v[72:73], -v[78:79]
	v_add_f64 v[174:175], v[74:75], -v[76:77]
	v_fma_f64 v[96:97], v[190:191], s[14:15], v[96:97]
	v_fma_f64 v[88:89], v[94:95], s[12:13], v[102:103]
	;; [unrolled: 1-line block ×3, first 2 shown]
	v_add_f64 v[102:103], v[86:87], -v[84:85]
	v_add_f64 v[112:113], v[78:79], -v[76:77]
	v_fma_f64 v[90:91], v[114:115], s[12:13], v[90:91]
	v_fma_f64 v[94:95], v[114:115], s[12:13], v[96:97]
	v_add_f64 v[96:97], v[80:81], -v[82:83]
	v_add_f64 v[96:97], v[96:97], v[102:103]
	v_add_f64 v[102:103], v[72:73], -v[74:75]
	v_add_f64 v[102:103], v[102:103], v[112:113]
	ds_read_b128 v[112:115], v0 offset:400
	s_waitcnt lgkmcnt(0)
	; wave barrier
	s_waitcnt lgkmcnt(0)
	ds_write_b128 v0, v[8:11]
	ds_write_b128 v0, v[116:119] offset:160
	ds_write_b128 v0, v[16:19] offset:320
	;; [unrolled: 1-line block ×19, first 2 shown]
	v_and_b32_e32 v5, 0xff, v155
	v_fma_f64 v[159:160], v[159:160], -0.5, v[112:113]
	v_fma_f64 v[192:193], v[188:189], -0.5, v[114:115]
	v_lshlrev_b32_e32 v4, 5, v200
	v_lshlrev_b32_e32 v29, 5, v3
	v_fma_f64 v[164:165], v[161:162], s[6:7], v[159:160]
	v_fma_f64 v[188:189], v[196:197], s[16:17], v[192:193]
	;; [unrolled: 1-line block ×10, first 2 shown]
	v_add_f64 v[96:97], v[80:81], v[86:87]
	v_add_f64 v[159:160], v[82:83], -v[80:81]
	v_fma_f64 v[164:165], v[198:199], s[14:15], v[164:165]
	v_fma_f64 v[96:97], v[96:97], -0.5, v[112:113]
	v_add_f64 v[112:113], v[112:113], v[80:81]
	v_fma_f64 v[194:195], v[102:103], s[12:13], v[164:165]
	v_add_f64 v[102:103], v[72:73], v[78:79]
	v_fma_f64 v[164:165], v[174:175], s[16:17], v[96:97]
	;; [unrolled: 2-line block ×3, first 2 shown]
	v_mov_b32_e32 v175, v200
	v_mov_b32_e32 v174, v236
	v_fma_f64 v[102:103], v[102:103], -0.5, v[114:115]
	v_add_f64 v[114:115], v[114:115], v[72:73]
	v_add_f64 v[72:73], v[74:75], -v[72:73]
	v_add_f64 v[82:83], v[112:113], v[84:85]
	v_add_f64 v[84:85], v[84:85], -v[86:87]
	v_fma_f64 v[96:97], v[161:162], s[18:19], v[96:97]
	v_add_f64 v[80:81], v[114:115], v[74:75]
	v_add_f64 v[74:75], v[76:77], -v[78:79]
	v_add_f64 v[84:85], v[159:160], v[84:85]
	v_lshl_add_u32 v159, v5, 4, v2
	v_and_b32_e32 v5, 0xff, v163
	v_lshl_add_u32 v160, v5, 4, v2
	ds_write_b128 v159, v[98:101] offset:1600
	ds_write_b128 v159, v[166:169] offset:1760
	;; [unrolled: 1-line block ×5, first 2 shown]
	v_add_f64 v[112:113], v[80:81], v[76:77]
	v_fma_f64 v[76:77], v[198:199], s[6:7], v[102:103]
	v_add_f64 v[80:81], v[82:83], v[86:87]
	v_fma_f64 v[86:87], v[161:162], s[14:15], v[164:165]
	v_lshlrev_b32_e32 v2, 5, v152
	v_add_f64 v[82:83], v[112:113], v[78:79]
	v_fma_f64 v[78:79], v[198:199], s[16:17], v[102:103]
	v_add_f64 v[102:103], v[72:73], v[74:75]
	v_fma_f64 v[74:75], v[196:197], s[18:19], v[76:77]
	v_fma_f64 v[72:73], v[84:85], s[12:13], v[86:87]
	;; [unrolled: 1-line block ×6, first 2 shown]
	ds_write_b128 v160, v[80:83] offset:1600
	ds_write_b128 v160, v[188:191] offset:1760
	;; [unrolled: 1-line block ×5, first 2 shown]
	s_waitcnt lgkmcnt(0)
	; wave barrier
	s_waitcnt lgkmcnt(0)
	global_load_dwordx4 v[188:191], v4, s[10:11] offset:640
	global_load_dwordx4 v[30:33], v4, s[10:11] offset:656
	;; [unrolled: 1-line block ×5, first 2 shown]
	ds_read_b128 v[5:8], v0 offset:800
	ds_read_b128 v[9:12], v0 offset:1600
	;; [unrolled: 1-line block ×3, first 2 shown]
	s_waitcnt vmcnt(3)
	buffer_store_dword v30, off, s[36:39], 0 offset:576 ; 4-byte Folded Spill
	s_nop 0
	buffer_store_dword v31, off, s[36:39], 0 offset:580 ; 4-byte Folded Spill
	buffer_store_dword v32, off, s[36:39], 0 offset:584 ; 4-byte Folded Spill
	;; [unrolled: 1-line block ×3, first 2 shown]
	s_waitcnt lgkmcnt(2)
	v_mul_f64 v[2:3], v[7:8], v[190:191]
	v_mul_f64 v[17:18], v[5:6], v[190:191]
	global_load_dwordx4 v[204:207], v29, s[10:11] offset:656
	s_waitcnt vmcnt(7) lgkmcnt(0)
	v_mul_f64 v[25:26], v[13:14], v[198:199]
	v_fma_f64 v[23:24], v[5:6], v[188:189], -v[2:3]
	v_mul_f64 v[2:3], v[15:16], v[198:199]
	v_fma_f64 v[17:18], v[7:8], v[188:189], v[17:18]
	ds_read_b128 v[5:8], v0 offset:1680
	v_mul_f64 v[19:20], v[11:12], v[32:33]
	v_mul_f64 v[21:22], v[9:10], v[32:33]
	v_fma_f64 v[9:10], v[9:10], v[30:31], -v[19:20]
	v_fma_f64 v[19:20], v[13:14], v[196:197], -v[2:3]
	s_waitcnt vmcnt(6) lgkmcnt(0)
	v_mul_f64 v[13:14], v[5:6], v[194:195]
	v_mul_f64 v[2:3], v[7:8], v[194:195]
	v_fma_f64 v[11:12], v[11:12], v[30:31], v[21:22]
	v_fma_f64 v[21:22], v[15:16], v[196:197], v[25:26]
	;; [unrolled: 1-line block ×3, first 2 shown]
	v_add_u32_e32 v13, 0x1e0, v4
	global_load_dwordx4 v[208:211], v13, s[10:11] offset:640
	global_load_dwordx4 v[212:215], v13, s[10:11] offset:656
	v_fma_f64 v[25:26], v[5:6], v[192:193], -v[2:3]
	ds_read_b128 v[5:8], v0 offset:960
	v_lshlrev_b32_e32 v13, 5, v153
	global_load_dwordx4 v[216:219], v13, s[10:11] offset:640
	global_load_dwordx4 v[220:223], v13, s[10:11] offset:656
	v_lshlrev_b32_e32 v13, 5, v154
	s_waitcnt vmcnt(9) lgkmcnt(0)
	v_mul_f64 v[2:3], v[7:8], v[202:203]
	global_load_dwordx4 v[224:227], v13, s[10:11] offset:640
	global_load_dwordx4 v[228:231], v13, s[10:11] offset:656
	v_add_u32_e32 v13, 0x3c0, v4
	global_load_dwordx4 v[232:235], v13, s[10:11] offset:640
	global_load_dwordx4 v[240:243], v13, s[10:11] offset:656
	v_add_u32_e32 v13, 0x460, v4
	global_load_dwordx4 v[244:247], v13, s[10:11] offset:640
	global_load_dwordx4 v[248:251], v13, s[10:11] offset:656
	v_fma_f64 v[30:31], v[5:6], v[200:201], -v[2:3]
	v_mul_f64 v[2:3], v[5:6], v[202:203]
	v_lshlrev_b32_e32 v13, 5, v236
	global_load_dwordx4 v[170:173], v13, s[10:11] offset:640
	global_load_dwordx4 v[166:169], v13, s[10:11] offset:656
	v_add_f64 v[38:39], v[21:22], v[27:28]
	v_fma_f64 v[32:33], v[7:8], v[200:201], v[2:3]
	ds_read_b128 v[5:8], v0 offset:1760
	s_waitcnt vmcnt(12) lgkmcnt(0)
	v_mul_f64 v[2:3], v[7:8], v[206:207]
	v_fma_f64 v[34:35], v[5:6], v[204:205], -v[2:3]
	v_mul_f64 v[2:3], v[5:6], v[206:207]
	v_fma_f64 v[36:37], v[7:8], v[204:205], v[2:3]
	ds_read_b128 v[5:8], v0 offset:1040
	v_add_f64 v[40:41], v[32:33], v[36:37]
	s_waitcnt vmcnt(11) lgkmcnt(0)
	v_mul_f64 v[2:3], v[7:8], v[210:211]
	v_fma_f64 v[42:43], v[5:6], v[208:209], -v[2:3]
	v_mul_f64 v[2:3], v[5:6], v[210:211]
	v_fma_f64 v[44:45], v[7:8], v[208:209], v[2:3]
	ds_read_b128 v[5:8], v0 offset:1840
	s_waitcnt vmcnt(10) lgkmcnt(0)
	v_mul_f64 v[2:3], v[7:8], v[214:215]
	v_fma_f64 v[46:47], v[5:6], v[212:213], -v[2:3]
	v_mul_f64 v[2:3], v[5:6], v[214:215]
	v_add_f64 v[50:51], v[42:43], v[46:47]
	v_fma_f64 v[48:49], v[7:8], v[212:213], v[2:3]
	ds_read_b128 v[5:8], v0 offset:1120
	s_waitcnt vmcnt(9) lgkmcnt(0)
	v_mul_f64 v[2:3], v[7:8], v[218:219]
	v_add_f64 v[52:53], v[44:45], v[48:49]
	v_fma_f64 v[54:55], v[5:6], v[216:217], -v[2:3]
	v_mul_f64 v[2:3], v[5:6], v[218:219]
	v_fma_f64 v[56:57], v[7:8], v[216:217], v[2:3]
	ds_read_b128 v[5:8], v0 offset:1920
	s_waitcnt vmcnt(8) lgkmcnt(0)
	v_mul_f64 v[2:3], v[7:8], v[222:223]
	v_fma_f64 v[58:59], v[5:6], v[220:221], -v[2:3]
	v_mul_f64 v[2:3], v[5:6], v[222:223]
	v_add_f64 v[62:63], v[54:55], v[58:59]
	v_fma_f64 v[60:61], v[7:8], v[220:221], v[2:3]
	ds_read_b128 v[5:8], v0 offset:1200
	s_waitcnt vmcnt(7) lgkmcnt(0)
	v_mul_f64 v[2:3], v[7:8], v[226:227]
	v_add_f64 v[64:65], v[56:57], v[60:61]
	;; [unrolled: 14-line block ×5, first 2 shown]
	v_fma_f64 v[102:103], v[5:6], v[170:171], -v[2:3]
	v_mul_f64 v[2:3], v[5:6], v[172:173]
	v_fma_f64 v[104:105], v[7:8], v[170:171], v[2:3]
	ds_read_b128 v[5:8], v0 offset:2240
	s_waitcnt vmcnt(0) lgkmcnt(0)
	v_mul_f64 v[2:3], v[7:8], v[168:169]
	v_fma_f64 v[106:107], v[5:6], v[166:167], -v[2:3]
	v_mul_f64 v[2:3], v[5:6], v[168:169]
	v_add_f64 v[110:111], v[102:103], v[106:107]
	v_fma_f64 v[108:109], v[7:8], v[166:167], v[2:3]
	v_add_u32_e32 v8, 0x5a0, v4
	global_load_dwordx4 v[252:255], v8, s[10:11] offset:640
	global_load_dwordx4 v[236:239], v8, s[10:11] offset:656
	ds_read_b128 v[2:5], v0 offset:1520
	s_mov_b32 s11, 0xbfebb67a
	s_mov_b32 s10, s28
	v_add_f64 v[112:113], v[104:105], v[108:109]
	s_waitcnt vmcnt(1) lgkmcnt(0)
	v_mul_f64 v[6:7], v[4:5], v[254:255]
	v_fma_f64 v[114:115], v[2:3], v[252:253], -v[6:7]
	v_mul_f64 v[2:3], v[2:3], v[254:255]
	v_fma_f64 v[116:117], v[4:5], v[252:253], v[2:3]
	ds_read_b128 v[2:5], v0 offset:2320
	s_waitcnt vmcnt(0) lgkmcnt(0)
	v_mul_f64 v[6:7], v[4:5], v[238:239]
	v_fma_f64 v[118:119], v[2:3], v[236:237], -v[6:7]
	v_mul_f64 v[2:3], v[2:3], v[238:239]
	v_add_f64 v[6:7], v[23:24], v[9:10]
	v_add_f64 v[154:155], v[114:115], v[118:119]
	v_fma_f64 v[152:153], v[4:5], v[236:237], v[2:3]
	ds_read_b128 v[2:5], v0
	s_waitcnt lgkmcnt(0)
	v_fma_f64 v[13:14], v[6:7], -0.5, v[2:3]
	v_add_f64 v[6:7], v[17:18], v[11:12]
	v_add_f64 v[2:3], v[2:3], v[23:24]
	v_add_f64 v[23:24], v[23:24], -v[9:10]
	v_add_f64 v[161:162], v[116:117], v[152:153]
	v_fma_f64 v[15:16], v[6:7], -0.5, v[4:5]
	v_add_f64 v[4:5], v[4:5], v[17:18]
	v_add_f64 v[17:18], v[17:18], -v[11:12]
	v_add_f64 v[2:3], v[2:3], v[9:10]
	v_fma_f64 v[8:9], v[23:24], s[10:11], v[15:16]
	v_add_f64 v[4:5], v[4:5], v[11:12]
	v_fma_f64 v[6:7], v[17:18], s[28:29], v[13:14]
	v_fma_f64 v[10:11], v[17:18], s[10:11], v[13:14]
	v_fma_f64 v[12:13], v[23:24], s[28:29], v[15:16]
	v_add_f64 v[23:24], v[19:20], v[25:26]
	ds_read_b128 v[14:17], v0 offset:80
	s_waitcnt lgkmcnt(0)
	v_fma_f64 v[38:39], v[38:39], -0.5, v[16:17]
	v_add_f64 v[16:17], v[16:17], v[21:22]
	v_fma_f64 v[23:24], v[23:24], -0.5, v[14:15]
	v_add_f64 v[14:15], v[14:15], v[19:20]
	v_add_f64 v[21:22], v[21:22], -v[27:28]
	v_add_f64 v[16:17], v[16:17], v[27:28]
	v_add_f64 v[14:15], v[14:15], v[25:26]
	v_add_f64 v[25:26], v[19:20], -v[25:26]
	v_fma_f64 v[18:19], v[21:22], s[28:29], v[23:24]
	v_fma_f64 v[22:23], v[21:22], s[10:11], v[23:24]
	;; [unrolled: 1-line block ×4, first 2 shown]
	ds_read_b128 v[26:29], v0 offset:160
	v_add_f64 v[38:39], v[30:31], v[34:35]
	s_waitcnt lgkmcnt(0)
	v_fma_f64 v[40:41], v[40:41], -0.5, v[28:29]
	v_add_f64 v[28:29], v[28:29], v[32:33]
	v_add_f64 v[32:33], v[32:33], -v[36:37]
	v_fma_f64 v[38:39], v[38:39], -0.5, v[26:27]
	v_add_f64 v[26:27], v[26:27], v[30:31]
	v_add_f64 v[28:29], v[28:29], v[36:37]
	v_add_f64 v[36:37], v[30:31], -v[34:35]
	v_fma_f64 v[30:31], v[32:33], s[28:29], v[38:39]
	v_add_f64 v[26:27], v[26:27], v[34:35]
	v_fma_f64 v[34:35], v[32:33], s[10:11], v[38:39]
	v_fma_f64 v[32:33], v[36:37], s[10:11], v[40:41]
	v_fma_f64 v[36:37], v[36:37], s[28:29], v[40:41]
	ds_read_b128 v[38:41], v0 offset:240
	s_waitcnt lgkmcnt(0)
	v_fma_f64 v[52:53], v[52:53], -0.5, v[40:41]
	v_add_f64 v[40:41], v[40:41], v[44:45]
	v_fma_f64 v[50:51], v[50:51], -0.5, v[38:39]
	v_add_f64 v[38:39], v[38:39], v[42:43]
	v_add_f64 v[44:45], v[44:45], -v[48:49]
	v_add_f64 v[40:41], v[40:41], v[48:49]
	v_add_f64 v[48:49], v[42:43], -v[46:47]
	v_add_f64 v[38:39], v[38:39], v[46:47]
	v_fma_f64 v[42:43], v[44:45], s[28:29], v[50:51]
	v_fma_f64 v[46:47], v[44:45], s[10:11], v[50:51]
	v_fma_f64 v[44:45], v[48:49], s[10:11], v[52:53]
	v_fma_f64 v[48:49], v[48:49], s[28:29], v[52:53]
	ds_read_b128 v[50:53], v0 offset:320
	s_waitcnt lgkmcnt(0)
	v_fma_f64 v[64:65], v[64:65], -0.5, v[52:53]
	v_add_f64 v[52:53], v[52:53], v[56:57]
	v_fma_f64 v[62:63], v[62:63], -0.5, v[50:51]
	v_add_f64 v[50:51], v[50:51], v[54:55]
	v_add_f64 v[56:57], v[56:57], -v[60:61]
	v_add_f64 v[52:53], v[52:53], v[60:61]
	v_add_f64 v[60:61], v[54:55], -v[58:59]
	v_add_f64 v[50:51], v[50:51], v[58:59]
	v_fma_f64 v[54:55], v[56:57], s[28:29], v[62:63]
	;; [unrolled: 14-line block ×7, first 2 shown]
	v_fma_f64 v[152:153], v[116:117], s[10:11], v[154:155]
	v_fma_f64 v[116:117], v[118:119], s[10:11], v[161:162]
	;; [unrolled: 1-line block ×3, first 2 shown]
	ds_write_b128 v0, v[2:5]
	ds_write_b128 v0, v[6:9] offset:800
	ds_write_b128 v0, v[10:13] offset:1600
	;; [unrolled: 1-line block ×29, first 2 shown]
	s_waitcnt lgkmcnt(0)
	; wave barrier
	s_waitcnt lgkmcnt(0)
	global_load_dwordx4 v[2:5], v1, s[8:9] offset:2400
	ds_read_b128 v[6:9], v0
	ds_read_b128 v[116:119], v0 offset:1840
	ds_read_b128 v[162:165], v0 offset:2320
	s_waitcnt vmcnt(0) lgkmcnt(2)
	v_mul_f64 v[10:11], v[8:9], v[4:5]
	v_mul_f64 v[4:5], v[6:7], v[4:5]
	v_fma_f64 v[112:113], v[6:7], v[2:3], -v[10:11]
	v_fma_f64 v[114:115], v[8:9], v[2:3], v[4:5]
	global_load_dwordx4 v[2:5], v1, s[20:21] offset:240
	ds_read_b128 v[6:9], v0 offset:240
	s_waitcnt vmcnt(0) lgkmcnt(0)
	v_mul_f64 v[10:11], v[8:9], v[4:5]
	v_mul_f64 v[4:5], v[6:7], v[4:5]
	v_fma_f64 v[108:109], v[6:7], v[2:3], -v[10:11]
	v_fma_f64 v[110:111], v[8:9], v[2:3], v[4:5]
	global_load_dwordx4 v[2:5], v1, s[20:21] offset:480
	;; [unrolled: 7-line block ×27, first 2 shown]
	s_waitcnt vmcnt(0)
	v_mul_f64 v[6:7], v[118:119], v[4:5]
	v_mul_f64 v[152:153], v[116:117], v[4:5]
	v_fma_f64 v[4:5], v[116:117], v[2:3], -v[6:7]
	v_fma_f64 v[6:7], v[118:119], v[2:3], v[152:153]
	global_load_dwordx4 v[152:155], v1, s[20:21] offset:2080
	ds_read_b128 v[116:119], v0 offset:2080
	s_waitcnt vmcnt(0) lgkmcnt(0)
	v_mul_f64 v[2:3], v[118:119], v[154:155]
	v_mul_f64 v[154:155], v[116:117], v[154:155]
	v_fma_f64 v[116:117], v[116:117], v[152:153], -v[2:3]
	v_fma_f64 v[118:119], v[118:119], v[152:153], v[154:155]
	global_load_dwordx4 v[152:155], v1, s[20:21] offset:2320
	s_waitcnt vmcnt(0)
	v_mul_f64 v[1:2], v[164:165], v[154:155]
	v_mul_f64 v[154:155], v[162:163], v[154:155]
	v_fma_f64 v[161:162], v[162:163], v[152:153], -v[1:2]
	v_fma_f64 v[163:164], v[164:165], v[152:153], v[154:155]
	ds_write_b128 v0, v[112:115]
	ds_write_b128 v0, v[108:111] offset:240
	ds_write_b128 v0, v[104:107] offset:480
	;; [unrolled: 1-line block ×29, first 2 shown]
	s_waitcnt lgkmcnt(0)
	; wave barrier
	s_waitcnt lgkmcnt(0)
	ds_read_b128 v[1:4], v0
	ds_read_b128 v[5:8], v0 offset:480
	ds_read_b128 v[9:12], v0 offset:960
	s_waitcnt lgkmcnt(1)
	v_add_f64 v[13:14], v[1:2], v[5:6]
	s_waitcnt lgkmcnt(0)
	v_add_f64 v[25:26], v[5:6], -v[9:10]
	v_add_f64 v[27:28], v[9:10], -v[5:6]
	v_add_f64 v[33:34], v[7:8], -v[11:12]
	v_add_f64 v[35:36], v[11:12], -v[7:8]
	v_add_f64 v[17:18], v[13:14], v[9:10]
	v_add_f64 v[13:14], v[3:4], v[7:8]
	;; [unrolled: 1-line block ×3, first 2 shown]
	ds_read_b128 v[13:16], v0 offset:1440
	s_waitcnt lgkmcnt(0)
	v_add_f64 v[21:22], v[9:10], v[13:14]
	v_add_f64 v[23:24], v[11:12], -v[15:16]
	v_add_f64 v[29:30], v[11:12], v[15:16]
	v_add_f64 v[31:32], v[9:10], -v[13:14]
	ds_read_b128 v[9:12], v0 offset:1920
	v_fma_f64 v[21:22], v[21:22], -0.5, v[1:2]
	s_waitcnt lgkmcnt(0)
	v_add_f64 v[37:38], v[7:8], -v[11:12]
	v_add_f64 v[39:40], v[5:6], v[9:10]
	v_add_f64 v[41:42], v[5:6], -v[9:10]
	v_add_f64 v[43:44], v[7:8], v[11:12]
	v_add_f64 v[5:6], v[17:18], v[13:14]
	;; [unrolled: 1-line block ×3, first 2 shown]
	v_add_f64 v[45:46], v[9:10], -v[13:14]
	v_add_f64 v[56:57], v[13:14], -v[9:10]
	;; [unrolled: 1-line block ×4, first 2 shown]
	v_fma_f64 v[29:30], v[29:30], -0.5, v[3:4]
	v_fma_f64 v[3:4], v[43:44], -0.5, v[3:4]
	v_add_f64 v[49:50], v[5:6], v[9:10]
	v_add_f64 v[51:52], v[7:8], v[11:12]
	ds_read_b128 v[5:8], v0 offset:240
	ds_read_b128 v[9:12], v0 offset:720
	;; [unrolled: 1-line block ×3, first 2 shown]
	v_fma_f64 v[1:2], v[39:40], -0.5, v[1:2]
	v_add_f64 v[27:28], v[27:28], v[56:57]
	s_waitcnt lgkmcnt(1)
	v_add_f64 v[17:18], v[5:6], v[9:10]
	s_waitcnt lgkmcnt(0)
	v_add_f64 v[64:65], v[9:10], -v[13:14]
	v_add_f64 v[66:67], v[13:14], -v[9:10]
	;; [unrolled: 1-line block ×4, first 2 shown]
	v_add_f64 v[53:54], v[17:18], v[13:14]
	v_add_f64 v[17:18], v[7:8], v[11:12]
	;; [unrolled: 1-line block ×3, first 2 shown]
	ds_read_b128 v[17:20], v0 offset:1680
	s_waitcnt lgkmcnt(0)
	v_add_f64 v[70:71], v[15:16], v[19:20]
	v_add_f64 v[53:54], v[53:54], v[17:18]
	;; [unrolled: 1-line block ×3, first 2 shown]
	v_add_f64 v[68:69], v[15:16], -v[19:20]
	v_add_f64 v[72:73], v[13:14], -v[17:18]
	ds_read_b128 v[13:16], v0 offset:2160
	v_add_f64 v[60:61], v[60:61], v[19:20]
	v_fma_f64 v[43:44], v[70:71], -0.5, v[7:8]
	s_waitcnt lgkmcnt(0)
	v_add_f64 v[80:81], v[9:10], v[13:14]
	v_add_f64 v[9:10], v[9:10], -v[13:14]
	v_add_f64 v[82:83], v[13:14], -v[17:18]
	;; [unrolled: 1-line block ×3, first 2 shown]
	v_add_f64 v[13:14], v[53:54], v[13:14]
	v_add_f64 v[78:79], v[11:12], -v[15:16]
	v_add_f64 v[11:12], v[11:12], v[15:16]
	v_add_f64 v[84:85], v[15:16], -v[19:20]
	v_fma_f64 v[39:40], v[62:63], -0.5, v[5:6]
	v_add_f64 v[19:20], v[19:20], -v[15:16]
	v_add_f64 v[15:16], v[60:61], v[15:16]
	v_fma_f64 v[5:6], v[80:81], -0.5, v[5:6]
	v_add_f64 v[152:153], v[49:50], v[13:14]
	v_add_f64 v[116:117], v[49:50], -v[13:14]
	v_add_f64 v[13:14], v[33:34], v[47:48]
	v_fma_f64 v[33:34], v[9:10], s[6:7], v[43:44]
	v_fma_f64 v[7:8], v[11:12], -0.5, v[7:8]
	v_add_f64 v[11:12], v[25:26], v[45:46]
	v_add_f64 v[25:26], v[74:75], v[84:85]
	v_fma_f64 v[45:46], v[78:79], s[16:17], v[39:40]
	v_add_f64 v[154:155], v[51:52], v[15:16]
	v_add_f64 v[118:119], v[51:52], -v[15:16]
	v_add_f64 v[15:16], v[64:65], v[82:83]
	v_fma_f64 v[33:34], v[72:73], s[14:15], v[33:34]
	v_fma_f64 v[49:50], v[41:42], s[6:7], v[29:30]
	v_add_f64 v[19:20], v[76:77], v[19:20]
	v_add_f64 v[17:18], v[66:67], v[17:18]
	v_fma_f64 v[45:46], v[68:69], s[18:19], v[45:46]
	v_fma_f64 v[33:34], v[25:26], s[12:13], v[33:34]
	;; [unrolled: 1-line block ×4, first 2 shown]
	v_mul_f64 v[47:48], v[33:34], s[18:19]
	v_fma_f64 v[50:51], v[13:14], s[12:13], v[49:50]
	v_fma_f64 v[47:48], v[45:46], s[26:27], v[47:48]
	v_mul_f64 v[45:46], v[45:46], s[14:15]
	v_fma_f64 v[33:34], v[33:34], s[26:27], v[45:46]
	v_fma_f64 v[45:46], v[37:38], s[16:17], v[21:22]
	v_add_f64 v[54:55], v[50:51], v[33:34]
	v_fma_f64 v[45:46], v[23:24], s[18:19], v[45:46]
	v_add_f64 v[50:51], v[50:51], -v[33:34]
	v_add_f64 v[33:34], v[35:36], v[58:59]
	v_fma_f64 v[35:36], v[72:73], s[16:17], v[7:8]
	v_fma_f64 v[7:8], v[72:73], s[6:7], v[7:8]
	;; [unrolled: 1-line block ×9, first 2 shown]
	v_add_f64 v[52:53], v[45:46], v[47:48]
	v_add_f64 v[48:49], v[45:46], -v[47:48]
	v_fma_f64 v[45:46], v[68:69], s[6:7], v[5:6]
	v_fma_f64 v[35:36], v[19:20], s[12:13], v[35:36]
	v_fma_f64 v[5:6], v[68:69], s[16:17], v[5:6]
	v_fma_f64 v[7:8], v[19:20], s[12:13], v[7:8]
	v_fma_f64 v[3:4], v[33:34], s[12:13], v[3:4]
	v_fma_f64 v[58:59], v[33:34], s[12:13], v[58:59]
	v_fma_f64 v[45:46], v[78:79], s[18:19], v[45:46]
	v_mul_f64 v[56:57], v[35:36], s[16:17]
	v_mul_f64 v[35:36], v[35:36], s[12:13]
	v_fma_f64 v[5:6], v[78:79], s[14:15], v[5:6]
	v_fma_f64 v[45:46], v[17:18], s[12:13], v[45:46]
	;; [unrolled: 1-line block ×3, first 2 shown]
	v_mul_f64 v[17:18], v[7:8], s[16:17]
	v_mul_f64 v[7:8], v[7:8], s[24:25]
	v_fma_f64 v[56:57], v[45:46], s[12:13], v[56:57]
	v_fma_f64 v[35:36], v[45:46], s[6:7], v[35:36]
	;; [unrolled: 1-line block ×7, first 2 shown]
	v_add_f64 v[62:63], v[58:59], v[35:36]
	v_fma_f64 v[45:46], v[37:38], s[18:19], v[45:46]
	v_fma_f64 v[1:2], v[37:38], s[14:15], v[1:2]
	v_add_f64 v[58:59], v[58:59], -v[35:36]
	v_add_f64 v[90:91], v[3:4], v[5:6]
	v_add_f64 v[66:67], v[3:4], -v[5:6]
	v_fma_f64 v[3:4], v[37:38], s[6:7], v[21:22]
	v_fma_f64 v[5:6], v[41:42], s[16:17], v[29:30]
	;; [unrolled: 1-line block ×8, first 2 shown]
	v_add_f64 v[60:61], v[45:46], v[56:57]
	v_add_f64 v[88:89], v[1:2], v[17:18]
	v_add_f64 v[64:65], v[1:2], -v[17:18]
	v_fma_f64 v[1:2], v[9:10], s[16:17], v[43:44]
	v_add_f64 v[56:57], v[45:46], -v[56:57]
	v_fma_f64 v[3:4], v[11:12], s[12:13], v[3:4]
	v_fma_f64 v[5:6], v[13:14], s[12:13], v[5:6]
	v_fma_f64 v[1:2], v[72:73], s[18:19], v[1:2]
	v_fma_f64 v[1:2], v[25:26], s[12:13], v[1:2]
	v_mul_f64 v[9:10], v[1:2], s[18:19]
	v_mul_f64 v[1:2], v[1:2], s[22:23]
	v_fma_f64 v[9:10], v[7:8], s[22:23], v[9:10]
	v_fma_f64 v[1:2], v[7:8], s[14:15], v[1:2]
	v_add_f64 v[44:45], v[3:4], v[9:10]
	v_add_f64 v[46:47], v[5:6], v[1:2]
	v_add_f64 v[96:97], v[3:4], -v[9:10]
	v_add_f64 v[98:99], v[5:6], -v[1:2]
	ds_read_b128 v[72:75], v0 offset:80
	ds_read_b128 v[68:71], v0 offset:320
	;; [unrolled: 1-line block ×20, first 2 shown]
	s_waitcnt lgkmcnt(0)
	; wave barrier
	s_waitcnt lgkmcnt(0)
	ds_write_b128 v156, v[152:155]
	ds_write_b128 v156, v[52:55] offset:16
	ds_write_b128 v156, v[60:63] offset:32
	;; [unrolled: 1-line block ×9, first 2 shown]
	v_add_f64 v[44:45], v[74:75], v[110:111]
	v_add_f64 v[1:2], v[72:73], v[108:109]
	;; [unrolled: 1-line block ×3, first 2 shown]
	v_add_f64 v[88:89], v[114:115], -v[102:103]
	v_add_f64 v[48:49], v[114:115], v[102:103]
	v_add_f64 v[90:91], v[112:113], -v[100:101]
	v_add_f64 v[58:59], v[104:105], -v[100:101]
	;; [unrolled: 1-line block ×3, first 2 shown]
	v_add_f64 v[44:45], v[44:45], v[114:115]
	v_add_f64 v[1:2], v[1:2], v[112:113]
	v_add_f64 v[66:67], v[106:107], -v[102:103]
	v_add_f64 v[54:55], v[110:111], -v[114:115]
	;; [unrolled: 1-line block ×3, first 2 shown]
	v_add_f64 v[50:51], v[108:109], v[104:105]
	v_add_f64 v[98:99], v[108:109], -v[104:105]
	v_add_f64 v[114:115], v[94:95], v[78:79]
	v_add_f64 v[44:45], v[44:45], v[102:103]
	;; [unrolled: 1-line block ×3, first 2 shown]
	v_add_f64 v[100:101], v[102:103], -v[106:107]
	v_add_f64 v[52:53], v[108:109], -v[112:113]
	v_add_f64 v[60:61], v[112:113], -v[108:109]
	v_add_f64 v[96:97], v[110:111], -v[106:107]
	v_add_f64 v[56:57], v[110:111], v[106:107]
	v_add_f64 v[110:111], v[84:85], -v[92:93]
	v_add_f64 v[102:103], v[44:45], v[106:107]
	v_add_f64 v[44:45], v[68:69], v[84:85]
	;; [unrolled: 1-line block ×5, first 2 shown]
	v_add_f64 v[112:113], v[92:93], -v[84:85]
	v_add_f64 v[152:153], v[84:85], v[80:81]
	v_add_f64 v[84:85], v[84:85], -v[80:81]
	v_add_f64 v[154:155], v[80:81], -v[76:77]
	v_add_f64 v[44:45], v[44:45], v[92:93]
	v_add_f64 v[92:93], v[92:93], -v[76:77]
	v_add_f64 v[104:105], v[104:105], v[94:95]
	v_fma_f64 v[114:115], v[114:115], -0.5, v[70:71]
	v_add_f64 v[108:109], v[94:95], -v[78:79]
	v_add_f64 v[116:117], v[86:87], -v[94:95]
	;; [unrolled: 1-line block ×4, first 2 shown]
	v_add_f64 v[44:45], v[44:45], v[76:77]
	v_add_f64 v[76:77], v[76:77], -v[80:81]
	v_add_f64 v[86:87], v[86:87], v[82:83]
	v_add_f64 v[104:105], v[104:105], v[78:79]
	v_add_f64 v[161:162], v[82:83], -v[78:79]
	v_fma_f64 v[163:164], v[48:49], -0.5, v[74:75]
	v_fma_f64 v[106:107], v[106:107], -0.5, v[68:69]
	v_add_f64 v[78:79], v[78:79], -v[82:83]
	v_add_f64 v[80:81], v[44:45], v[80:81]
	v_fma_f64 v[74:75], v[56:57], -0.5, v[74:75]
	v_fma_f64 v[70:71], v[86:87], -0.5, v[70:71]
	v_add_f64 v[82:83], v[104:105], v[82:83]
	v_add_f64 v[86:87], v[116:117], v[161:162]
	v_fma_f64 v[104:105], v[46:47], -0.5, v[72:73]
	v_fma_f64 v[72:73], v[50:51], -0.5, v[72:73]
	v_fma_f64 v[68:69], v[152:153], -0.5, v[68:69]
	v_add_f64 v[44:45], v[1:2], v[80:81]
	v_add_f64 v[48:49], v[1:2], -v[80:81]
	v_add_f64 v[1:2], v[52:53], v[58:59]
	v_fma_f64 v[52:53], v[84:85], s[6:7], v[114:115]
	v_add_f64 v[80:81], v[54:55], v[66:67]
	v_fma_f64 v[54:55], v[118:119], s[16:17], v[106:107]
	v_add_f64 v[46:47], v[102:103], v[82:83]
	v_add_f64 v[50:51], v[102:103], -v[82:83]
	v_add_f64 v[82:83], v[110:111], v[154:155]
	v_add_f64 v[100:101], v[62:63], v[100:101]
	;; [unrolled: 1-line block ×3, first 2 shown]
	v_fma_f64 v[52:53], v[92:93], s[14:15], v[52:53]
	v_fma_f64 v[62:63], v[108:109], s[6:7], v[68:69]
	;; [unrolled: 1-line block ×3, first 2 shown]
	v_add_f64 v[76:77], v[112:113], v[76:77]
	v_fma_f64 v[68:69], v[108:109], s[16:17], v[68:69]
	v_fma_f64 v[52:53], v[86:87], s[12:13], v[52:53]
	;; [unrolled: 1-line block ×5, first 2 shown]
	v_mul_f64 v[56:57], v[52:53], s[18:19]
	v_fma_f64 v[62:63], v[76:77], s[12:13], v[62:63]
	v_fma_f64 v[68:69], v[76:77], s[12:13], v[68:69]
	;; [unrolled: 1-line block ×3, first 2 shown]
	v_mul_f64 v[54:55], v[54:55], s[14:15]
	v_fma_f64 v[58:59], v[52:53], s[26:27], v[54:55]
	v_fma_f64 v[54:55], v[98:99], s[6:7], v[163:164]
	;; [unrolled: 1-line block ×7, first 2 shown]
	v_add_f64 v[54:55], v[102:103], v[58:59]
	v_add_f64 v[58:59], v[102:103], -v[58:59]
	v_add_f64 v[102:103], v[60:61], v[64:65]
	v_fma_f64 v[60:61], v[92:93], s[16:17], v[70:71]
	v_fma_f64 v[70:71], v[92:93], s[6:7], v[70:71]
	v_add_f64 v[52:53], v[66:67], v[56:57]
	v_add_f64 v[56:57], v[66:67], -v[56:57]
	v_fma_f64 v[60:61], v[84:85], s[14:15], v[60:61]
	v_fma_f64 v[70:71], v[84:85], s[18:19], v[70:71]
	;; [unrolled: 1-line block ×4, first 2 shown]
	v_mul_f64 v[64:65], v[60:61], s[16:17]
	v_mul_f64 v[60:61], v[60:61], s[12:13]
	;; [unrolled: 1-line block ×4, first 2 shown]
	v_fma_f64 v[64:65], v[62:63], s[12:13], v[64:65]
	v_fma_f64 v[66:67], v[62:63], s[6:7], v[60:61]
	;; [unrolled: 1-line block ×16, first 2 shown]
	v_add_f64 v[60:61], v[94:95], v[64:65]
	v_add_f64 v[68:69], v[72:73], v[76:77]
	v_add_f64 v[72:73], v[72:73], -v[76:77]
	v_fma_f64 v[76:77], v[84:85], s[16:17], v[114:115]
	v_add_f64 v[64:65], v[94:95], -v[64:65]
	v_add_f64 v[70:71], v[74:75], v[78:79]
	v_add_f64 v[74:75], v[74:75], -v[78:79]
	v_fma_f64 v[78:79], v[96:97], s[6:7], v[104:105]
	v_fma_f64 v[84:85], v[98:99], s[16:17], v[163:164]
	;; [unrolled: 1-line block ×3, first 2 shown]
	v_add_f64 v[62:63], v[110:111], v[66:67]
	v_fma_f64 v[76:77], v[92:93], s[18:19], v[76:77]
	v_add_f64 v[66:67], v[110:111], -v[66:67]
	v_fma_f64 v[78:79], v[88:89], s[14:15], v[78:79]
	v_fma_f64 v[84:85], v[90:91], s[18:19], v[84:85]
	;; [unrolled: 1-line block ×4, first 2 shown]
	v_add_f64 v[86:87], v[14:15], -v[10:11]
	v_fma_f64 v[1:2], v[1:2], s[12:13], v[78:79]
	v_fma_f64 v[84:85], v[80:81], s[12:13], v[84:85]
	;; [unrolled: 1-line block ×3, first 2 shown]
	v_add_f64 v[88:89], v[10:11], -v[14:15]
	v_mul_f64 v[80:81], v[76:77], s[18:19]
	v_mul_f64 v[76:77], v[76:77], s[22:23]
	v_fma_f64 v[80:81], v[78:79], s[22:23], v[80:81]
	v_fma_f64 v[82:83], v[78:79], s[14:15], v[76:77]
	v_add_f64 v[76:77], v[1:2], v[80:81]
	v_add_f64 v[78:79], v[84:85], v[82:83]
	v_add_f64 v[80:81], v[1:2], -v[80:81]
	v_add_f64 v[82:83], v[84:85], -v[82:83]
	ds_write_b128 v157, v[44:47]
	ds_write_b128 v157, v[52:55] offset:16
	ds_write_b128 v157, v[60:63] offset:32
	;; [unrolled: 1-line block ×9, first 2 shown]
	v_add_f64 v[1:2], v[4:5], v[32:33]
	v_add_f64 v[44:45], v[6:7], v[34:35]
	v_add_f64 v[48:49], v[38:39], -v[26:27]
	v_add_f64 v[50:51], v[32:33], -v[36:37]
	;; [unrolled: 1-line block ×3, first 2 shown]
	v_add_f64 v[54:55], v[38:39], v[26:27]
	v_add_f64 v[56:57], v[34:35], -v[38:39]
	v_add_f64 v[58:59], v[34:35], -v[30:31]
	v_add_f64 v[1:2], v[1:2], v[36:37]
	v_add_f64 v[44:45], v[44:45], v[38:39]
	v_add_f64 v[38:39], v[38:39], -v[34:35]
	v_add_f64 v[60:61], v[32:33], v[28:29]
	v_add_f64 v[62:63], v[32:33], -v[28:29]
	v_add_f64 v[32:33], v[34:35], v[30:31]
	v_add_f64 v[46:47], v[36:37], v[24:25]
	v_add_f64 v[36:37], v[36:37], -v[24:25]
	v_add_f64 v[1:2], v[1:2], v[24:25]
	v_add_f64 v[34:35], v[44:45], v[26:27]
	v_add_f64 v[44:45], v[28:29], -v[24:25]
	v_add_f64 v[24:25], v[24:25], -v[28:29]
	;; [unrolled: 1-line block ×4, first 2 shown]
	v_add_f64 v[66:67], v[20:21], v[8:9]
	v_add_f64 v[68:69], v[22:23], -v[10:11]
	v_add_f64 v[28:29], v[1:2], v[28:29]
	v_add_f64 v[30:31], v[34:35], v[30:31]
	;; [unrolled: 1-line block ×4, first 2 shown]
	v_add_f64 v[70:71], v[16:17], -v[20:21]
	v_add_f64 v[72:73], v[20:21], -v[16:17]
	v_add_f64 v[74:75], v[22:23], v[10:11]
	v_add_f64 v[76:77], v[20:21], -v[8:9]
	v_add_f64 v[78:79], v[18:19], -v[14:15]
	v_add_f64 v[80:81], v[16:17], v[12:13]
	v_add_f64 v[1:2], v[1:2], v[20:21]
	v_add_f64 v[34:35], v[34:35], v[22:23]
	v_add_f64 v[20:21], v[18:19], -v[22:23]
	v_add_f64 v[22:23], v[22:23], -v[18:19]
	;; [unrolled: 1-line block ×3, first 2 shown]
	v_add_f64 v[16:17], v[18:19], v[14:15]
	v_add_f64 v[84:85], v[8:9], -v[12:13]
	v_fma_f64 v[74:75], v[74:75], -0.5, v[42:43]
	v_add_f64 v[1:2], v[1:2], v[8:9]
	v_add_f64 v[18:19], v[34:35], v[10:11]
	v_add_f64 v[34:35], v[12:13], -v[8:9]
	v_fma_f64 v[46:47], v[46:47], -0.5, v[4:5]
	v_fma_f64 v[60:61], v[60:61], -0.5, v[4:5]
	;; [unrolled: 1-line block ×5, first 2 shown]
	v_add_f64 v[8:9], v[1:2], v[12:13]
	v_add_f64 v[10:11], v[18:19], v[14:15]
	;; [unrolled: 1-line block ×6, first 2 shown]
	v_fma_f64 v[42:43], v[16:17], -0.5, v[42:43]
	v_fma_f64 v[40:41], v[80:81], -0.5, v[40:41]
	v_add_f64 v[1:2], v[28:29], v[8:9]
	v_add_f64 v[3:4], v[30:31], v[10:11]
	v_add_f64 v[5:6], v[28:29], -v[8:9]
	v_add_f64 v[7:8], v[30:31], -v[10:11]
	v_fma_f64 v[9:10], v[82:83], s[6:7], v[74:75]
	v_fma_f64 v[11:12], v[78:79], s[16:17], v[66:67]
	v_add_f64 v[28:29], v[52:53], v[24:25]
	v_add_f64 v[25:26], v[38:39], v[26:27]
	;; [unrolled: 1-line block ×4, first 2 shown]
	v_fma_f64 v[9:10], v[76:77], s[14:15], v[9:10]
	v_fma_f64 v[11:12], v[68:69], s[18:19], v[11:12]
	;; [unrolled: 1-line block ×4, first 2 shown]
	v_mul_f64 v[13:14], v[9:10], s[18:19]
	v_fma_f64 v[13:14], v[11:12], s[26:27], v[13:14]
	v_mul_f64 v[11:12], v[11:12], s[14:15]
	v_fma_f64 v[15:16], v[9:10], s[26:27], v[11:12]
	v_fma_f64 v[9:10], v[58:59], s[16:17], v[46:47]
	v_fma_f64 v[11:12], v[62:63], s[6:7], v[54:55]
	v_fma_f64 v[9:10], v[48:49], s[18:19], v[9:10]
	v_fma_f64 v[11:12], v[36:37], s[14:15], v[11:12]
	v_fma_f64 v[17:18], v[44:45], s[12:13], v[9:10]
	v_fma_f64 v[19:20], v[50:51], s[12:13], v[11:12]
	v_add_f64 v[9:10], v[17:18], v[13:14]
	v_add_f64 v[13:14], v[17:18], -v[13:14]
	v_fma_f64 v[17:18], v[76:77], s[16:17], v[42:43]
	v_add_f64 v[11:12], v[19:20], v[15:16]
	v_add_f64 v[15:16], v[19:20], -v[15:16]
	v_fma_f64 v[19:20], v[68:69], s[6:7], v[40:41]
	v_fma_f64 v[17:18], v[82:83], s[14:15], v[17:18]
	v_fma_f64 v[19:20], v[78:79], s[18:19], v[19:20]
	v_fma_f64 v[17:18], v[38:39], s[12:13], v[17:18]
	v_fma_f64 v[19:20], v[30:31], s[12:13], v[19:20]
	v_mul_f64 v[21:22], v[17:18], s[16:17]
	v_mul_f64 v[17:18], v[17:18], s[12:13]
	v_fma_f64 v[21:22], v[19:20], s[12:13], v[21:22]
	v_fma_f64 v[23:24], v[19:20], s[6:7], v[17:18]
	;; [unrolled: 1-line block ×8, first 2 shown]
	v_add_f64 v[17:18], v[52:53], v[21:22]
	v_add_f64 v[21:22], v[52:53], -v[21:22]
	v_fma_f64 v[52:53], v[48:49], s[16:17], v[60:61]
	v_add_f64 v[19:20], v[64:65], v[23:24]
	v_add_f64 v[23:24], v[64:65], -v[23:24]
	v_fma_f64 v[52:53], v[58:59], s[14:15], v[52:53]
	v_fma_f64 v[52:53], v[28:29], s[12:13], v[52:53]
	;; [unrolled: 1-line block ×19, first 2 shown]
	v_mul_f64 v[29:30], v[25:26], s[16:17]
	v_mul_f64 v[25:26], v[25:26], s[24:25]
	v_fma_f64 v[29:30], v[27:28], s[24:25], v[29:30]
	v_fma_f64 v[38:39], v[27:28], s[6:7], v[25:26]
	v_add_f64 v[25:26], v[52:53], v[29:30]
	v_add_f64 v[27:28], v[32:33], v[38:39]
	v_add_f64 v[31:32], v[32:33], -v[38:39]
	v_fma_f64 v[38:39], v[82:83], s[16:17], v[74:75]
	v_fma_f64 v[33:34], v[34:35], s[12:13], v[42:43]
	v_add_f64 v[29:30], v[52:53], -v[29:30]
	v_fma_f64 v[38:39], v[76:77], s[18:19], v[38:39]
	v_fma_f64 v[38:39], v[56:57], s[12:13], v[38:39]
	v_mul_f64 v[35:36], v[38:39], s[18:19]
	v_mul_f64 v[37:38], v[38:39], s[22:23]
	v_fma_f64 v[42:43], v[33:34], s[22:23], v[35:36]
	v_fma_f64 v[46:47], v[33:34], s[14:15], v[37:38]
	v_add_f64 v[33:34], v[40:41], v[42:43]
	v_add_f64 v[35:36], v[44:45], v[46:47]
	v_add_f64 v[37:38], v[40:41], -v[42:43]
	v_add_f64 v[39:40], v[44:45], -v[46:47]
	ds_write_b128 v158, v[1:4]
	ds_write_b128 v158, v[9:12] offset:16
	ds_write_b128 v158, v[17:20] offset:32
	;; [unrolled: 1-line block ×9, first 2 shown]
	s_waitcnt lgkmcnt(0)
	; wave barrier
	s_waitcnt lgkmcnt(0)
	ds_read_b128 v[1:4], v0 offset:480
	s_waitcnt lgkmcnt(0)
	v_mul_f64 v[5:6], v[146:147], v[3:4]
	v_fma_f64 v[12:13], v[144:145], v[1:2], v[5:6]
	v_mul_f64 v[1:2], v[146:147], v[1:2]
	v_fma_f64 v[14:15], v[144:145], v[3:4], -v[1:2]
	ds_read_b128 v[1:4], v0 offset:640
	s_waitcnt lgkmcnt(0)
	v_mul_f64 v[5:6], v[146:147], v[3:4]
	v_fma_f64 v[48:49], v[144:145], v[1:2], v[5:6]
	v_mul_f64 v[1:2], v[146:147], v[1:2]
	v_fma_f64 v[52:53], v[144:145], v[3:4], -v[1:2]
	;; [unrolled: 6-line block ×5, first 2 shown]
	ds_read_b128 v[1:4], v0 offset:1600
	s_waitcnt lgkmcnt(0)
	v_mul_f64 v[5:6], v[126:127], v[3:4]
	v_add_f64 v[66:67], v[18:19], v[22:23]
	v_add_f64 v[64:65], v[18:19], -v[22:23]
	v_fma_f64 v[58:59], v[124:125], v[1:2], v[5:6]
	v_mul_f64 v[1:2], v[126:127], v[1:2]
	v_fma_f64 v[56:57], v[124:125], v[3:4], -v[1:2]
	ds_read_b128 v[1:4], v0 offset:1920
	s_waitcnt lgkmcnt(0)
	v_mul_f64 v[5:6], v[122:123], v[3:4]
	v_fma_f64 v[24:25], v[120:121], v[1:2], v[5:6]
	v_mul_f64 v[1:2], v[122:123], v[1:2]
	v_fma_f64 v[26:27], v[120:121], v[3:4], -v[1:2]
	ds_read_b128 v[1:4], v0 offset:2080
	s_waitcnt lgkmcnt(0)
	v_mul_f64 v[5:6], v[122:123], v[3:4]
	v_add_f64 v[28:29], v[14:15], -v[26:27]
	v_fma_f64 v[62:63], v[120:121], v[1:2], v[5:6]
	v_mul_f64 v[1:2], v[122:123], v[1:2]
	v_add_f64 v[122:123], v[16:17], -v[20:21]
	v_add_f64 v[126:127], v[48:49], -v[62:63]
	v_fma_f64 v[60:61], v[120:121], v[3:4], -v[1:2]
	ds_read_b128 v[1:4], v0 offset:560
	v_add_f64 v[120:121], v[12:13], -v[24:25]
	s_waitcnt lgkmcnt(0)
	v_mul_f64 v[5:6], v[150:151], v[3:4]
	v_fma_f64 v[32:33], v[148:149], v[1:2], v[5:6]
	v_mul_f64 v[1:2], v[150:151], v[1:2]
	v_fma_f64 v[34:35], v[148:149], v[3:4], -v[1:2]
	ds_read_b128 v[1:4], v0 offset:720
	s_waitcnt lgkmcnt(0)
	v_mul_f64 v[5:6], v[150:151], v[3:4]
	v_fma_f64 v[68:69], v[148:149], v[1:2], v[5:6]
	v_mul_f64 v[1:2], v[150:151], v[1:2]
	v_fma_f64 v[104:105], v[148:149], v[3:4], -v[1:2]
	ds_read_b128 v[1:4], v0 offset:1040
	;; [unrolled: 6-line block ×3, first 2 shown]
	s_waitcnt lgkmcnt(0)
	v_mul_f64 v[5:6], v[142:143], v[3:4]
	v_fma_f64 v[70:71], v[140:141], v[1:2], v[5:6]
	v_mul_f64 v[1:2], v[142:143], v[1:2]
	v_add_f64 v[134:135], v[70:71], -v[68:69]
	v_fma_f64 v[106:107], v[140:141], v[3:4], -v[1:2]
	ds_read_b128 v[1:4], v0 offset:1520
	s_waitcnt lgkmcnt(0)
	v_mul_f64 v[5:6], v[138:139], v[3:4]
	v_fma_f64 v[40:41], v[136:137], v[1:2], v[5:6]
	v_mul_f64 v[1:2], v[138:139], v[1:2]
	v_add_f64 v[124:125], v[36:37], -v[40:41]
	v_fma_f64 v[42:43], v[136:137], v[3:4], -v[1:2]
	ds_read_b128 v[1:4], v0 offset:1680
	s_waitcnt lgkmcnt(0)
	v_mul_f64 v[5:6], v[138:139], v[3:4]
	v_fma_f64 v[112:113], v[136:137], v[1:2], v[5:6]
	v_mul_f64 v[1:2], v[138:139], v[1:2]
	v_fma_f64 v[108:109], v[136:137], v[3:4], -v[1:2]
	ds_read_b128 v[1:4], v0 offset:2000
	s_waitcnt lgkmcnt(0)
	v_mul_f64 v[5:6], v[130:131], v[3:4]
	v_fma_f64 v[44:45], v[128:129], v[1:2], v[5:6]
	v_mul_f64 v[1:2], v[130:131], v[1:2]
	;; [unrolled: 6-line block ×3, first 2 shown]
	v_add_f64 v[130:131], v[50:51], -v[48:49]
	v_fma_f64 v[110:111], v[128:129], v[3:4], -v[1:2]
	ds_read_b128 v[1:4], v0 offset:800
	buffer_load_dword v7, off, s[36:39], 0 offset:496 ; 4-byte Folded Reload
	buffer_load_dword v8, off, s[36:39], 0 offset:500 ; 4-byte Folded Reload
	;; [unrolled: 1-line block ×4, first 2 shown]
	v_add_f64 v[128:129], v[50:51], -v[58:59]
	s_waitcnt vmcnt(0) lgkmcnt(0)
	v_mul_f64 v[5:6], v[9:10], v[3:4]
	v_fma_f64 v[96:97], v[7:8], v[1:2], v[5:6]
	v_mul_f64 v[1:2], v[9:10], v[1:2]
	v_fma_f64 v[88:89], v[7:8], v[3:4], -v[1:2]
	ds_read_b128 v[1:4], v0 offset:1280
	buffer_load_dword v7, off, s[36:39], 0 offset:512 ; 4-byte Folded Reload
	buffer_load_dword v8, off, s[36:39], 0 offset:516 ; 4-byte Folded Reload
	;; [unrolled: 1-line block ×4, first 2 shown]
	s_waitcnt vmcnt(0) lgkmcnt(0)
	v_mul_f64 v[5:6], v[9:10], v[3:4]
	v_fma_f64 v[98:99], v[7:8], v[1:2], v[5:6]
	v_mul_f64 v[1:2], v[9:10], v[1:2]
	v_add_f64 v[138:139], v[98:99], -v[96:97]
	v_fma_f64 v[90:91], v[7:8], v[3:4], -v[1:2]
	ds_read_b128 v[1:4], v0 offset:1760
	buffer_load_dword v7, off, s[36:39], 0 offset:528 ; 4-byte Folded Reload
	buffer_load_dword v8, off, s[36:39], 0 offset:532 ; 4-byte Folded Reload
	buffer_load_dword v9, off, s[36:39], 0 offset:536 ; 4-byte Folded Reload
	buffer_load_dword v10, off, s[36:39], 0 offset:540 ; 4-byte Folded Reload
	s_waitcnt vmcnt(0) lgkmcnt(0)
	v_mul_f64 v[5:6], v[9:10], v[3:4]
	v_fma_f64 v[100:101], v[7:8], v[1:2], v[5:6]
	v_mul_f64 v[1:2], v[9:10], v[1:2]
	v_fma_f64 v[92:93], v[7:8], v[3:4], -v[1:2]
	ds_read_b128 v[1:4], v0 offset:2240
	buffer_load_dword v7, off, s[36:39], 0 offset:544 ; 4-byte Folded Reload
	buffer_load_dword v8, off, s[36:39], 0 offset:548 ; 4-byte Folded Reload
	buffer_load_dword v9, off, s[36:39], 0 offset:552 ; 4-byte Folded Reload
	buffer_load_dword v10, off, s[36:39], 0 offset:556 ; 4-byte Folded Reload
	s_waitcnt vmcnt(0) lgkmcnt(0)
	v_mul_f64 v[5:6], v[9:10], v[3:4]
	v_fma_f64 v[102:103], v[7:8], v[1:2], v[5:6]
	v_mul_f64 v[1:2], v[9:10], v[1:2]
	;; [unrolled: 10-line block ×3, first 2 shown]
	v_fma_f64 v[72:73], v[7:8], v[3:4], -v[1:2]
	ds_read_b128 v[1:4], v0 offset:1360
	ds_read_b128 v[8:11], v0
	s_waitcnt lgkmcnt(1)
	v_mul_f64 v[5:6], v[178:179], v[3:4]
	s_waitcnt lgkmcnt(0)
	v_fma_f64 v[66:67], v[66:67], -0.5, v[10:11]
	v_fma_f64 v[84:85], v[176:177], v[1:2], v[5:6]
	v_mul_f64 v[1:2], v[178:179], v[1:2]
	v_fma_f64 v[116:117], v[120:121], s[6:7], v[66:67]
	v_fma_f64 v[74:75], v[176:177], v[3:4], -v[1:2]
	ds_read_b128 v[1:4], v0 offset:1840
	v_fma_f64 v[118:119], v[122:123], s[14:15], v[116:117]
	s_waitcnt lgkmcnt(0)
	v_mul_f64 v[5:6], v[182:183], v[3:4]
	v_fma_f64 v[82:83], v[180:181], v[1:2], v[5:6]
	v_mul_f64 v[1:2], v[182:183], v[1:2]
	v_fma_f64 v[76:77], v[180:181], v[3:4], -v[1:2]
	ds_read_b128 v[1:4], v0 offset:2320
	s_waitcnt lgkmcnt(0)
	v_mul_f64 v[5:6], v[186:187], v[3:4]
	v_fma_f64 v[86:87], v[184:185], v[1:2], v[5:6]
	v_mul_f64 v[1:2], v[186:187], v[1:2]
	v_add_f64 v[5:6], v[26:27], -v[22:23]
	v_fma_f64 v[78:79], v[184:185], v[3:4], -v[1:2]
	v_add_f64 v[1:2], v[12:13], -v[16:17]
	v_add_f64 v[3:4], v[24:25], -v[20:21]
	v_add_f64 v[1:2], v[1:2], v[3:4]
	v_add_f64 v[3:4], v[14:15], -v[18:19]
	v_add_f64 v[6:7], v[3:4], v[5:6]
	v_add_f64 v[3:4], v[16:17], v[20:21]
	v_fma_f64 v[118:119], v[6:7], s[12:13], v[118:119]
	v_fma_f64 v[3:4], v[3:4], -0.5, v[8:9]
	v_fma_f64 v[30:31], v[28:29], s[16:17], v[3:4]
	v_fma_f64 v[3:4], v[28:29], s[6:7], v[3:4]
	;; [unrolled: 1-line block ×7, first 2 shown]
	v_add_f64 v[1:2], v[12:13], v[24:25]
	v_add_f64 v[66:67], v[38:39], -v[42:43]
	v_fma_f64 v[30:31], v[122:123], s[18:19], v[30:31]
	v_fma_f64 v[1:2], v[1:2], -0.5, v[8:9]
	v_add_f64 v[8:9], v[8:9], v[12:13]
	v_add_f64 v[12:13], v[16:17], -v[12:13]
	v_fma_f64 v[6:7], v[6:7], s[12:13], v[30:31]
	v_add_f64 v[30:31], v[14:15], v[26:27]
	v_add_f64 v[8:9], v[8:9], v[16:17]
	v_fma_f64 v[16:17], v[64:65], s[6:7], v[1:2]
	v_fma_f64 v[1:2], v[64:65], s[16:17], v[1:2]
	v_add_f64 v[64:65], v[34:35], -v[46:47]
	v_fma_f64 v[30:31], v[30:31], -0.5, v[10:11]
	v_add_f64 v[10:11], v[10:11], v[14:15]
	v_add_f64 v[8:9], v[8:9], v[20:21]
	v_add_f64 v[20:21], v[20:21], -v[24:25]
	v_add_f64 v[14:15], v[18:19], -v[14:15]
	v_fma_f64 v[16:17], v[28:29], s[18:19], v[16:17]
	v_fma_f64 v[1:2], v[28:29], s[14:15], v[1:2]
	v_add_f64 v[10:11], v[10:11], v[18:19]
	v_add_f64 v[8:9], v[8:9], v[24:25]
	v_add_f64 v[18:19], v[22:23], -v[26:27]
	v_fma_f64 v[24:25], v[122:123], s[6:7], v[30:31]
	v_add_f64 v[12:13], v[12:13], v[20:21]
	v_add_f64 v[10:11], v[10:11], v[22:23]
	v_fma_f64 v[22:23], v[122:123], s[16:17], v[30:31]
	v_add_f64 v[14:15], v[14:15], v[18:19]
	v_fma_f64 v[20:21], v[120:121], s[18:19], v[24:25]
	v_fma_f64 v[16:17], v[12:13], s[12:13], v[16:17]
	;; [unrolled: 1-line block ×3, first 2 shown]
	v_add_f64 v[1:2], v[32:33], -v[36:37]
	ds_read_b128 v[28:31], v0 offset:80
	v_add_f64 v[10:11], v[10:11], v[26:27]
	v_fma_f64 v[18:19], v[120:121], s[14:15], v[22:23]
	v_add_f64 v[22:23], v[46:47], -v[42:43]
	v_add_f64 v[122:123], v[32:33], -v[44:45]
	v_fma_f64 v[18:19], v[14:15], s[12:13], v[18:19]
	v_fma_f64 v[14:15], v[14:15], s[12:13], v[20:21]
	v_add_f64 v[20:21], v[44:45], -v[40:41]
	v_add_f64 v[1:2], v[1:2], v[20:21]
	v_add_f64 v[20:21], v[34:35], -v[38:39]
	v_add_f64 v[26:27], v[20:21], v[22:23]
	v_add_f64 v[20:21], v[36:37], v[40:41]
	;; [unrolled: 1-line block ×3, first 2 shown]
	s_waitcnt lgkmcnt(0)
	v_fma_f64 v[24:25], v[20:21], -0.5, v[28:29]
	v_fma_f64 v[120:121], v[22:23], -0.5, v[30:31]
	v_fma_f64 v[20:21], v[64:65], s[16:17], v[24:25]
	v_fma_f64 v[24:25], v[64:65], s[6:7], v[24:25]
	;; [unrolled: 1-line block ×10, first 2 shown]
	v_add_f64 v[1:2], v[32:33], v[44:45]
	v_fma_f64 v[22:23], v[26:27], s[12:13], v[22:23]
	v_fma_f64 v[26:27], v[26:27], s[12:13], v[120:121]
	v_add_f64 v[120:121], v[34:35], v[46:47]
	v_fma_f64 v[1:2], v[1:2], -0.5, v[28:29]
	v_add_f64 v[28:29], v[28:29], v[32:33]
	v_add_f64 v[32:33], v[36:37], -v[32:33]
	v_fma_f64 v[120:121], v[120:121], -0.5, v[30:31]
	v_add_f64 v[30:31], v[30:31], v[34:35]
	v_add_f64 v[34:35], v[38:39], -v[34:35]
	v_add_f64 v[28:29], v[28:29], v[36:37]
	v_fma_f64 v[36:37], v[66:67], s[6:7], v[1:2]
	v_fma_f64 v[1:2], v[66:67], s[16:17], v[1:2]
	v_add_f64 v[30:31], v[30:31], v[38:39]
	v_add_f64 v[38:39], v[42:43], -v[46:47]
	v_add_f64 v[28:29], v[28:29], v[40:41]
	v_add_f64 v[40:41], v[40:41], -v[44:45]
	v_fma_f64 v[36:37], v[64:65], s[18:19], v[36:37]
	v_add_f64 v[30:31], v[30:31], v[42:43]
	v_fma_f64 v[42:43], v[124:125], s[16:17], v[120:121]
	v_fma_f64 v[1:2], v[64:65], s[14:15], v[1:2]
	v_add_f64 v[34:35], v[34:35], v[38:39]
	ds_read_b128 v[64:67], v0 offset:160
	v_add_f64 v[28:29], v[28:29], v[44:45]
	v_fma_f64 v[44:45], v[124:125], s[6:7], v[120:121]
	v_add_f64 v[32:33], v[32:33], v[40:41]
	v_add_f64 v[30:31], v[30:31], v[46:47]
	v_fma_f64 v[38:39], v[122:123], s[14:15], v[42:43]
	v_add_f64 v[42:43], v[60:61], -v[56:57]
	v_add_f64 v[120:121], v[52:53], -v[60:61]
	v_fma_f64 v[40:41], v[122:123], s[18:19], v[44:45]
	v_fma_f64 v[36:37], v[32:33], s[12:13], v[36:37]
	;; [unrolled: 1-line block ×4, first 2 shown]
	v_add_f64 v[1:2], v[48:49], -v[50:51]
	v_add_f64 v[122:123], v[54:55], -v[56:57]
	v_fma_f64 v[34:35], v[34:35], s[12:13], v[40:41]
	v_add_f64 v[40:41], v[62:63], -v[58:59]
	v_add_f64 v[1:2], v[1:2], v[40:41]
	v_add_f64 v[40:41], v[52:53], -v[54:55]
	v_add_f64 v[46:47], v[40:41], v[42:43]
	v_add_f64 v[40:41], v[50:51], v[58:59]
	;; [unrolled: 1-line block ×3, first 2 shown]
	s_waitcnt lgkmcnt(0)
	v_fma_f64 v[44:45], v[40:41], -0.5, v[64:65]
	v_fma_f64 v[124:125], v[42:43], -0.5, v[66:67]
	v_fma_f64 v[40:41], v[120:121], s[16:17], v[44:45]
	v_fma_f64 v[42:43], v[126:127], s[6:7], v[124:125]
	;; [unrolled: 1-line block ×12, first 2 shown]
	v_add_f64 v[1:2], v[48:49], v[62:63]
	v_add_f64 v[124:125], v[52:53], v[60:61]
	v_fma_f64 v[1:2], v[1:2], -0.5, v[64:65]
	v_fma_f64 v[124:125], v[124:125], -0.5, v[66:67]
	v_add_f64 v[64:65], v[64:65], v[48:49]
	v_add_f64 v[66:67], v[66:67], v[52:53]
	v_add_f64 v[52:53], v[54:55], -v[52:53]
	v_fma_f64 v[132:133], v[122:123], s[6:7], v[1:2]
	v_fma_f64 v[1:2], v[122:123], s[16:17], v[1:2]
	v_add_f64 v[64:65], v[64:65], v[50:51]
	v_add_f64 v[48:49], v[66:67], v[54:55]
	v_add_f64 v[54:55], v[56:57], -v[60:61]
	v_fma_f64 v[1:2], v[120:121], s[14:15], v[1:2]
	v_add_f64 v[50:51], v[64:65], v[58:59]
	v_add_f64 v[64:65], v[48:49], v[56:57]
	v_add_f64 v[58:59], v[58:59], -v[62:63]
	v_fma_f64 v[56:57], v[128:129], s[16:17], v[124:125]
	v_add_f64 v[54:55], v[52:53], v[54:55]
	v_add_f64 v[48:49], v[50:51], v[62:63]
	;; [unrolled: 1-line block ×3, first 2 shown]
	v_fma_f64 v[60:61], v[128:129], s[6:7], v[124:125]
	v_add_f64 v[62:63], v[130:131], v[58:59]
	v_fma_f64 v[58:59], v[120:121], s[18:19], v[132:133]
	v_fma_f64 v[52:53], v[126:127], s[14:15], v[56:57]
	ds_read_b128 v[120:123], v0 offset:240
	v_add_f64 v[124:125], v[104:105], -v[110:111]
	v_add_f64 v[130:131], v[68:69], -v[114:115]
	v_add_f64 v[132:133], v[70:71], -v[112:113]
	v_fma_f64 v[60:61], v[126:127], s[18:19], v[60:61]
	v_add_f64 v[126:127], v[106:107], -v[108:109]
	v_fma_f64 v[56:57], v[62:63], s[12:13], v[58:59]
	v_fma_f64 v[58:59], v[54:55], s[12:13], v[52:53]
	;; [unrolled: 1-line block ×3, first 2 shown]
	v_add_f64 v[1:2], v[68:69], -v[70:71]
	v_add_f64 v[62:63], v[110:111], -v[108:109]
	v_fma_f64 v[54:55], v[54:55], s[12:13], v[60:61]
	v_add_f64 v[60:61], v[114:115], -v[112:113]
	v_add_f64 v[1:2], v[1:2], v[60:61]
	v_add_f64 v[60:61], v[104:105], -v[106:107]
	v_add_f64 v[66:67], v[60:61], v[62:63]
	v_add_f64 v[60:61], v[70:71], v[112:113]
	v_add_f64 v[62:63], v[106:107], v[108:109]
	s_waitcnt lgkmcnt(0)
	v_fma_f64 v[64:65], v[60:61], -0.5, v[120:121]
	v_fma_f64 v[128:129], v[62:63], -0.5, v[122:123]
	v_fma_f64 v[60:61], v[124:125], s[16:17], v[64:65]
	v_fma_f64 v[64:65], v[124:125], s[6:7], v[64:65]
	;; [unrolled: 1-line block ×10, first 2 shown]
	v_add_f64 v[1:2], v[68:69], v[114:115]
	v_fma_f64 v[62:63], v[66:67], s[12:13], v[62:63]
	v_fma_f64 v[66:67], v[66:67], s[12:13], v[128:129]
	v_add_f64 v[128:129], v[104:105], v[110:111]
	v_fma_f64 v[1:2], v[1:2], -0.5, v[120:121]
	v_add_f64 v[120:121], v[120:121], v[68:69]
	v_fma_f64 v[128:129], v[128:129], -0.5, v[122:123]
	v_add_f64 v[122:123], v[122:123], v[104:105]
	v_add_f64 v[104:105], v[106:107], -v[104:105]
	v_fma_f64 v[136:137], v[126:127], s[6:7], v[1:2]
	v_add_f64 v[120:121], v[120:121], v[70:71]
	v_fma_f64 v[1:2], v[126:127], s[16:17], v[1:2]
	v_add_f64 v[68:69], v[122:123], v[106:107]
	v_add_f64 v[106:107], v[108:109], -v[110:111]
	v_add_f64 v[122:123], v[90:91], v[92:93]
	v_add_f64 v[70:71], v[120:121], v[112:113]
	v_add_f64 v[112:113], v[112:113], -v[114:115]
	v_fma_f64 v[1:2], v[124:125], s[14:15], v[1:2]
	v_add_f64 v[120:121], v[68:69], v[108:109]
	v_fma_f64 v[108:109], v[132:133], s[16:17], v[128:129]
	v_add_f64 v[68:69], v[70:71], v[114:115]
	v_add_f64 v[112:113], v[134:135], v[112:113]
	v_fma_f64 v[114:115], v[124:125], s[18:19], v[136:137]
	v_add_f64 v[70:71], v[120:121], v[110:111]
	v_fma_f64 v[110:111], v[132:133], s[6:7], v[128:129]
	;; [unrolled: 2-line block ×3, first 2 shown]
	v_add_f64 v[128:129], v[88:89], -v[94:95]
	v_add_f64 v[134:135], v[96:97], -v[102:103]
	v_fma_f64 v[108:109], v[112:113], s[12:13], v[1:2]
	v_fma_f64 v[104:105], v[112:113], s[12:13], v[114:115]
	v_add_f64 v[1:2], v[96:97], -v[98:99]
	v_add_f64 v[112:113], v[102:103], -v[100:101]
	v_fma_f64 v[110:111], v[130:131], s[18:19], v[110:111]
	v_add_f64 v[114:115], v[94:95], -v[92:93]
	v_fma_f64 v[106:107], v[120:121], s[12:13], v[106:107]
	v_add_f64 v[130:131], v[90:91], -v[92:93]
	v_add_f64 v[136:137], v[98:99], -v[100:101]
	v_add_f64 v[1:2], v[1:2], v[112:113]
	v_add_f64 v[112:113], v[88:89], -v[90:91]
	v_fma_f64 v[110:111], v[120:121], s[12:13], v[110:111]
	v_add_f64 v[120:121], v[98:99], v[100:101]
	v_add_f64 v[126:127], v[112:113], v[114:115]
	ds_read_b128 v[112:115], v0 offset:320
	s_waitcnt lgkmcnt(0)
	v_fma_f64 v[124:125], v[120:121], -0.5, v[112:113]
	v_fma_f64 v[132:133], v[122:123], -0.5, v[114:115]
	v_fma_f64 v[120:121], v[128:129], s[16:17], v[124:125]
	v_fma_f64 v[124:125], v[128:129], s[6:7], v[124:125]
	;; [unrolled: 1-line block ×10, first 2 shown]
	v_add_f64 v[1:2], v[96:97], v[102:103]
	v_fma_f64 v[122:123], v[126:127], s[12:13], v[122:123]
	v_fma_f64 v[126:127], v[126:127], s[12:13], v[132:133]
	v_add_f64 v[132:133], v[88:89], v[94:95]
	v_fma_f64 v[1:2], v[1:2], -0.5, v[112:113]
	v_add_f64 v[112:113], v[112:113], v[96:97]
	v_fma_f64 v[132:133], v[132:133], -0.5, v[114:115]
	v_add_f64 v[114:115], v[114:115], v[88:89]
	v_add_f64 v[88:89], v[90:91], -v[88:89]
	v_fma_f64 v[140:141], v[130:131], s[6:7], v[1:2]
	v_add_f64 v[112:113], v[112:113], v[98:99]
	v_fma_f64 v[1:2], v[130:131], s[16:17], v[1:2]
	v_add_f64 v[96:97], v[114:115], v[90:91]
	v_add_f64 v[90:91], v[92:93], -v[94:95]
	v_add_f64 v[114:115], v[74:75], v[76:77]
	v_add_f64 v[98:99], v[112:113], v[100:101]
	v_add_f64 v[100:101], v[100:101], -v[102:103]
	v_fma_f64 v[1:2], v[128:129], s[14:15], v[1:2]
	v_add_f64 v[112:113], v[96:97], v[92:93]
	v_fma_f64 v[92:93], v[136:137], s[16:17], v[132:133]
	v_add_f64 v[96:97], v[98:99], v[102:103]
	v_add_f64 v[100:101], v[138:139], v[100:101]
	v_fma_f64 v[102:103], v[128:129], s[18:19], v[140:141]
	v_add_f64 v[98:99], v[112:113], v[94:95]
	v_fma_f64 v[94:95], v[136:137], s[6:7], v[132:133]
	;; [unrolled: 2-line block ×3, first 2 shown]
	v_add_f64 v[132:133], v[72:73], -v[78:79]
	v_add_f64 v[138:139], v[80:81], -v[86:87]
	v_fma_f64 v[92:93], v[100:101], s[12:13], v[1:2]
	v_fma_f64 v[88:89], v[100:101], s[12:13], v[102:103]
	v_add_f64 v[1:2], v[80:81], -v[84:85]
	v_add_f64 v[100:101], v[86:87], -v[82:83]
	v_fma_f64 v[94:95], v[134:135], s[18:19], v[94:95]
	v_add_f64 v[102:103], v[78:79], -v[76:77]
	v_fma_f64 v[90:91], v[112:113], s[12:13], v[90:91]
	v_add_f64 v[134:135], v[74:75], -v[76:77]
	v_add_f64 v[140:141], v[84:85], -v[82:83]
	v_add_f64 v[1:2], v[1:2], v[100:101]
	v_add_f64 v[100:101], v[72:73], -v[74:75]
	v_fma_f64 v[94:95], v[112:113], s[12:13], v[94:95]
	v_add_f64 v[112:113], v[84:85], v[82:83]
	v_add_f64 v[130:131], v[100:101], v[102:103]
	ds_read_b128 v[100:103], v0 offset:400
	s_waitcnt lgkmcnt(0)
	; wave barrier
	s_waitcnt lgkmcnt(0)
	v_fma_f64 v[128:129], v[112:113], -0.5, v[100:101]
	v_fma_f64 v[136:137], v[114:115], -0.5, v[102:103]
	v_fma_f64 v[112:113], v[132:133], s[16:17], v[128:129]
	v_fma_f64 v[114:115], v[138:139], s[6:7], v[136:137]
	;; [unrolled: 1-line block ×12, first 2 shown]
	v_add_f64 v[1:2], v[80:81], v[86:87]
	v_add_f64 v[136:137], v[72:73], v[78:79]
	v_fma_f64 v[1:2], v[1:2], -0.5, v[100:101]
	v_fma_f64 v[136:137], v[136:137], -0.5, v[102:103]
	v_add_f64 v[100:101], v[100:101], v[80:81]
	v_add_f64 v[102:103], v[102:103], v[72:73]
	v_add_f64 v[72:73], v[74:75], -v[72:73]
	v_fma_f64 v[142:143], v[134:135], s[6:7], v[1:2]
	v_fma_f64 v[1:2], v[134:135], s[16:17], v[1:2]
	v_add_f64 v[100:101], v[100:101], v[84:85]
	v_add_f64 v[84:85], v[84:85], -v[80:81]
	v_add_f64 v[80:81], v[102:103], v[74:75]
	v_add_f64 v[134:135], v[82:83], -v[86:87]
	v_add_f64 v[74:75], v[76:77], -v[78:79]
	v_fma_f64 v[1:2], v[132:133], s[14:15], v[1:2]
	v_add_f64 v[100:101], v[100:101], v[82:83]
	v_add_f64 v[102:103], v[80:81], v[76:77]
	v_fma_f64 v[76:77], v[140:141], s[16:17], v[136:137]
	v_add_f64 v[84:85], v[84:85], v[134:135]
	v_add_f64 v[80:81], v[100:101], v[86:87]
	v_fma_f64 v[86:87], v[132:133], s[18:19], v[142:143]
	v_add_f64 v[82:83], v[102:103], v[78:79]
	v_fma_f64 v[78:79], v[140:141], s[6:7], v[136:137]
	;; [unrolled: 2-line block ×3, first 2 shown]
	v_fma_f64 v[76:77], v[84:85], s[12:13], v[1:2]
	v_fma_f64 v[72:73], v[84:85], s[12:13], v[86:87]
	v_fma_f64 v[78:79], v[138:139], s[18:19], v[78:79]
	v_fma_f64 v[74:75], v[100:101], s[12:13], v[74:75]
	v_fma_f64 v[78:79], v[100:101], s[12:13], v[78:79]
	ds_write_b128 v0, v[8:11]
	ds_write_b128 v0, v[116:119] offset:160
	ds_write_b128 v0, v[16:19] offset:320
	;; [unrolled: 1-line block ×29, first 2 shown]
	s_waitcnt lgkmcnt(0)
	; wave barrier
	s_waitcnt lgkmcnt(0)
	ds_read_b128 v[1:4], v0 offset:800
	ds_read_b128 v[5:8], v0 offset:1600
	ds_read_b128 v[9:12], v0
	ds_read_b128 v[44:47], v0 offset:80
	ds_read_b128 v[13:16], v0 offset:880
	buffer_load_dword v17, off, s[36:39], 0 offset:576 ; 4-byte Folded Reload
	buffer_load_dword v18, off, s[36:39], 0 offset:580 ; 4-byte Folded Reload
	;; [unrolled: 1-line block ×4, first 2 shown]
	ds_read_b128 v[40:43], v0 offset:1520
	s_waitcnt lgkmcnt(5)
	v_mul_f64 v[21:22], v[190:191], v[3:4]
	v_mul_f64 v[23:24], v[190:191], v[1:2]
	ds_read_b128 v[48:51], v0 offset:2320
	ds_read_b128 v[52:55], v0 offset:160
	;; [unrolled: 1-line block ×4, first 2 shown]
	v_fma_f64 v[64:65], v[188:189], v[1:2], v[21:22]
	v_fma_f64 v[66:67], v[188:189], v[3:4], -v[23:24]
	s_waitcnt lgkmcnt(5)
	v_mul_f64 v[21:22], v[198:199], v[15:16]
	v_mul_f64 v[23:24], v[198:199], v[13:14]
	ds_read_b128 v[1:4], v0 offset:960
	v_fma_f64 v[72:73], v[196:197], v[13:14], v[21:22]
	v_fma_f64 v[74:75], v[196:197], v[15:16], -v[23:24]
	ds_read_b128 v[13:16], v0 offset:1040
	s_waitcnt lgkmcnt(1)
	v_mul_f64 v[21:22], v[202:203], v[3:4]
	v_mul_f64 v[23:24], v[202:203], v[1:2]
	v_fma_f64 v[80:81], v[200:201], v[1:2], v[21:22]
	v_fma_f64 v[82:83], v[200:201], v[3:4], -v[23:24]
	s_waitcnt lgkmcnt(0)
	v_mul_f64 v[21:22], v[210:211], v[15:16]
	v_mul_f64 v[23:24], v[210:211], v[13:14]
	ds_read_b128 v[1:4], v0 offset:1120
	v_fma_f64 v[88:89], v[208:209], v[13:14], v[21:22]
	v_fma_f64 v[90:91], v[208:209], v[15:16], -v[23:24]
	ds_read_b128 v[13:16], v0 offset:1200
	s_waitcnt lgkmcnt(1)
	v_mul_f64 v[21:22], v[218:219], v[3:4]
	v_mul_f64 v[23:24], v[218:219], v[1:2]
	;; [unrolled: 12-line block ×3, first 2 shown]
	v_fma_f64 v[112:113], v[232:233], v[1:2], v[21:22]
	s_waitcnt lgkmcnt(0)
	v_mul_f64 v[21:22], v[246:247], v[15:16]
	v_fma_f64 v[114:115], v[232:233], v[3:4], -v[23:24]
	ds_read_b128 v[1:4], v0 offset:1440
	v_mul_f64 v[23:24], v[246:247], v[13:14]
	s_waitcnt vmcnt(0)
	v_mul_f64 v[25:26], v[19:20], v[7:8]
	v_mul_f64 v[27:28], v[19:20], v[5:6]
	v_mov_b32_e32 v30, v18
	v_mov_b32_e32 v29, v17
	ds_read_b128 v[17:20], v0 offset:1680
	v_fma_f64 v[32:33], v[244:245], v[13:14], v[21:22]
	s_waitcnt lgkmcnt(1)
	v_mul_f64 v[13:14], v[172:173], v[3:4]
	v_fma_f64 v[34:35], v[244:245], v[15:16], -v[23:24]
	v_fma_f64 v[68:69], v[29:30], v[5:6], v[25:26]
	v_fma_f64 v[70:71], v[29:30], v[7:8], -v[27:28]
	ds_read_b128 v[5:8], v0 offset:1760
	s_waitcnt lgkmcnt(1)
	v_mul_f64 v[25:26], v[194:195], v[19:20]
	v_mul_f64 v[27:28], v[194:195], v[17:18]
	v_mul_f64 v[15:16], v[172:173], v[1:2]
	v_fma_f64 v[22:23], v[170:171], v[1:2], v[13:14]
	v_mul_f64 v[1:2], v[254:255], v[42:43]
	v_fma_f64 v[76:77], v[192:193], v[17:18], v[25:26]
	v_fma_f64 v[78:79], v[192:193], v[19:20], -v[27:28]
	s_waitcnt lgkmcnt(0)
	v_mul_f64 v[25:26], v[206:207], v[7:8]
	v_mul_f64 v[27:28], v[206:207], v[5:6]
	ds_read_b128 v[17:20], v0 offset:1840
	v_fma_f64 v[84:85], v[204:205], v[5:6], v[25:26]
	v_fma_f64 v[86:87], v[204:205], v[7:8], -v[27:28]
	ds_read_b128 v[5:8], v0 offset:1920
	s_waitcnt lgkmcnt(1)
	v_mul_f64 v[25:26], v[214:215], v[19:20]
	v_mul_f64 v[27:28], v[214:215], v[17:18]
	v_fma_f64 v[92:93], v[212:213], v[17:18], v[25:26]
	v_fma_f64 v[94:95], v[212:213], v[19:20], -v[27:28]
	s_waitcnt lgkmcnt(0)
	v_mul_f64 v[25:26], v[222:223], v[7:8]
	v_mul_f64 v[27:28], v[222:223], v[5:6]
	ds_read_b128 v[17:20], v0 offset:2000
	v_fma_f64 v[100:101], v[220:221], v[5:6], v[25:26]
	v_fma_f64 v[102:103], v[220:221], v[7:8], -v[27:28]
	ds_read_b128 v[5:8], v0 offset:2080
	s_waitcnt lgkmcnt(1)
	v_mul_f64 v[25:26], v[230:231], v[19:20]
	v_mul_f64 v[27:28], v[230:231], v[17:18]
	v_fma_f64 v[108:109], v[228:229], v[17:18], v[25:26]
	v_fma_f64 v[110:111], v[228:229], v[19:20], -v[27:28]
	s_waitcnt lgkmcnt(0)
	v_mul_f64 v[25:26], v[242:243], v[7:8]
	v_mul_f64 v[27:28], v[242:243], v[5:6]
	ds_read_b128 v[17:20], v0 offset:2160
	v_fma_f64 v[116:117], v[240:241], v[5:6], v[25:26]
	v_fma_f64 v[118:119], v[240:241], v[7:8], -v[27:28]
	ds_read_b128 v[5:8], v0 offset:2240
	s_waitcnt lgkmcnt(1)
	v_mul_f64 v[25:26], v[250:251], v[19:20]
	v_mul_f64 v[27:28], v[250:251], v[17:18]
	v_fma_f64 v[36:37], v[248:249], v[17:18], v[25:26]
	v_fma_f64 v[38:39], v[248:249], v[19:20], -v[27:28]
	s_waitcnt lgkmcnt(0)
	v_mul_f64 v[17:18], v[168:169], v[7:8]
	v_mul_f64 v[19:20], v[168:169], v[5:6]
	v_fma_f64 v[24:25], v[170:171], v[3:4], -v[15:16]
	v_mul_f64 v[3:4], v[254:255], v[40:41]
	v_fma_f64 v[26:27], v[166:167], v[5:6], v[17:18]
	v_fma_f64 v[28:29], v[166:167], v[7:8], -v[19:20]
	v_mul_f64 v[5:6], v[238:239], v[50:51]
	v_add_f64 v[7:8], v[64:65], v[68:69]
	v_fma_f64 v[16:17], v[252:253], v[40:41], v[1:2]
	v_mul_f64 v[1:2], v[238:239], v[48:49]
	v_fma_f64 v[20:21], v[252:253], v[42:43], -v[3:4]
	v_add_f64 v[3:4], v[9:10], v[64:65]
	v_add_f64 v[42:43], v[66:67], -v[70:71]
	v_add_f64 v[64:65], v[64:65], -v[68:69]
	v_fma_f64 v[18:19], v[236:237], v[48:49], v[5:6]
	v_add_f64 v[5:6], v[66:67], v[70:71]
	v_fma_f64 v[13:14], v[7:8], -0.5, v[9:10]
	v_fma_f64 v[30:31], v[236:237], v[50:51], -v[1:2]
	v_add_f64 v[1:2], v[11:12], v[66:67]
	v_add_f64 v[66:67], v[72:73], v[76:77]
	;; [unrolled: 1-line block ×4, first 2 shown]
	ds_read_b128 v[48:51], v0 offset:400
	v_fma_f64 v[6:7], v[5:6], -0.5, v[11:12]
	v_fma_f64 v[8:9], v[42:43], s[10:11], v[13:14]
	v_fma_f64 v[4:5], v[42:43], s[28:29], v[13:14]
	v_add_f64 v[42:43], v[1:2], v[70:71]
	v_add_f64 v[1:2], v[74:75], v[78:79]
	v_fma_f64 v[14:15], v[66:67], -0.5, v[44:45]
	v_add_f64 v[66:67], v[74:75], -v[78:79]
	v_add_f64 v[12:13], v[44:45], v[72:73]
	v_fma_f64 v[10:11], v[64:65], s[28:29], v[6:7]
	v_fma_f64 v[6:7], v[64:65], s[10:11], v[6:7]
	v_add_f64 v[70:71], v[80:81], v[84:85]
	v_add_f64 v[72:73], v[72:73], -v[76:77]
	v_fma_f64 v[1:2], v[1:2], -0.5, v[46:47]
	v_add_f64 v[74:75], v[52:53], v[80:81]
	v_fma_f64 v[44:45], v[66:67], s[10:11], v[14:15]
	v_fma_f64 v[64:65], v[66:67], s[28:29], v[14:15]
	v_add_f64 v[14:15], v[68:69], v[78:79]
	v_add_f64 v[68:69], v[82:83], v[86:87]
	;; [unrolled: 1-line block ×4, first 2 shown]
	v_fma_f64 v[70:71], v[70:71], -0.5, v[52:53]
	v_add_f64 v[76:77], v[82:83], -v[86:87]
	v_fma_f64 v[46:47], v[72:73], s[28:29], v[1:2]
	v_fma_f64 v[66:67], v[72:73], s[10:11], v[1:2]
	v_add_f64 v[52:53], v[74:75], v[84:85]
	v_add_f64 v[1:2], v[88:89], v[92:93]
	v_fma_f64 v[74:75], v[68:69], -0.5, v[54:55]
	v_add_f64 v[80:81], v[80:81], -v[84:85]
	v_add_f64 v[54:55], v[78:79], v[86:87]
	v_add_f64 v[78:79], v[90:91], v[94:95]
	;; [unrolled: 1-line block ×3, first 2 shown]
	v_fma_f64 v[68:69], v[76:77], s[10:11], v[70:71]
	v_fma_f64 v[72:73], v[76:77], s[28:29], v[70:71]
	v_add_f64 v[76:77], v[56:57], v[88:89]
	v_fma_f64 v[1:2], v[1:2], -0.5, v[56:57]
	v_add_f64 v[82:83], v[90:91], -v[94:95]
	v_fma_f64 v[70:71], v[80:81], s[28:29], v[74:75]
	v_fma_f64 v[74:75], v[80:81], s[10:11], v[74:75]
	v_add_f64 v[80:81], v[96:97], v[100:101]
	v_fma_f64 v[86:87], v[78:79], -0.5, v[58:59]
	v_add_f64 v[90:91], v[98:99], v[102:103]
	v_add_f64 v[58:59], v[84:85], v[94:95]
	;; [unrolled: 1-line block ×4, first 2 shown]
	v_add_f64 v[88:89], v[88:89], -v[92:93]
	v_fma_f64 v[76:77], v[82:83], s[10:11], v[1:2]
	v_fma_f64 v[92:93], v[80:81], -0.5, v[60:61]
	v_fma_f64 v[60:61], v[82:83], s[28:29], v[1:2]
	v_add_f64 v[1:2], v[62:63], v[98:99]
	v_add_f64 v[94:95], v[98:99], -v[102:103]
	v_fma_f64 v[90:91], v[90:91], -0.5, v[62:63]
	v_add_f64 v[96:97], v[96:97], -v[100:101]
	v_add_f64 v[80:81], v[84:85], v[100:101]
	v_add_f64 v[98:99], v[104:105], v[108:109]
	v_add_f64 v[100:101], v[106:107], v[110:111]
	v_fma_f64 v[78:79], v[88:89], s[28:29], v[86:87]
	v_add_f64 v[82:83], v[1:2], v[102:103]
	s_waitcnt lgkmcnt(0)
	v_add_f64 v[1:2], v[50:51], v[106:107]
	v_fma_f64 v[62:63], v[88:89], s[10:11], v[86:87]
	v_fma_f64 v[84:85], v[94:95], s[10:11], v[92:93]
	;; [unrolled: 1-line block ×5, first 2 shown]
	v_add_f64 v[92:93], v[48:49], v[104:105]
	v_fma_f64 v[96:97], v[98:99], -0.5, v[48:49]
	v_fma_f64 v[98:99], v[100:101], -0.5, v[50:51]
	v_add_f64 v[100:101], v[112:113], v[116:117]
	ds_read_b128 v[48:51], v0 offset:480
	v_add_f64 v[102:103], v[106:107], -v[110:111]
	v_add_f64 v[106:107], v[114:115], v[118:119]
	v_add_f64 v[94:95], v[1:2], v[110:111]
	v_add_f64 v[1:2], v[104:105], -v[108:109]
	s_waitcnt lgkmcnt(0)
	v_add_f64 v[104:105], v[48:49], v[112:113]
	v_add_f64 v[92:93], v[92:93], v[108:109]
	v_fma_f64 v[108:109], v[100:101], -0.5, v[48:49]
	v_add_f64 v[110:111], v[114:115], -v[118:119]
	v_add_f64 v[114:115], v[50:51], v[114:115]
	v_fma_f64 v[120:121], v[106:107], -0.5, v[50:51]
	v_add_f64 v[112:113], v[112:113], -v[116:117]
	v_fma_f64 v[48:49], v[102:103], s[10:11], v[96:97]
	v_add_f64 v[100:101], v[104:105], v[116:117]
	v_add_f64 v[116:117], v[34:35], v[38:39]
	v_fma_f64 v[96:97], v[102:103], s[28:29], v[96:97]
	v_fma_f64 v[50:51], v[1:2], s[28:29], v[98:99]
	;; [unrolled: 1-line block ×5, first 2 shown]
	v_add_f64 v[102:103], v[114:115], v[118:119]
	v_fma_f64 v[106:107], v[112:113], s[28:29], v[120:121]
	v_add_f64 v[1:2], v[32:33], v[36:37]
	v_fma_f64 v[110:111], v[112:113], s[10:11], v[120:121]
	ds_read_b128 v[112:115], v0 offset:560
	v_add_f64 v[120:121], v[32:33], -v[36:37]
	v_add_f64 v[118:119], v[34:35], -v[38:39]
	v_add_f64 v[124:125], v[20:21], v[30:31]
	s_waitcnt lgkmcnt(0)
	v_fma_f64 v[116:117], v[116:117], -0.5, v[114:115]
	v_add_f64 v[114:115], v[114:115], v[34:35]
	v_fma_f64 v[1:2], v[1:2], -0.5, v[112:113]
	v_add_f64 v[112:113], v[112:113], v[32:33]
	v_add_f64 v[34:35], v[114:115], v[38:39]
	v_fma_f64 v[38:39], v[120:121], s[28:29], v[116:117]
	v_fma_f64 v[114:115], v[120:121], s[10:11], v[116:117]
	v_add_f64 v[120:121], v[24:25], v[28:29]
	v_add_f64 v[32:33], v[112:113], v[36:37]
	v_fma_f64 v[36:37], v[118:119], s[10:11], v[1:2]
	v_fma_f64 v[112:113], v[118:119], s[28:29], v[1:2]
	ds_read_b128 v[116:119], v0 offset:640
	v_add_f64 v[1:2], v[22:23], v[26:27]
	s_waitcnt lgkmcnt(0)
	v_fma_f64 v[120:121], v[120:121], -0.5, v[118:119]
	v_add_f64 v[118:119], v[118:119], v[24:25]
	v_add_f64 v[24:25], v[24:25], -v[28:29]
	v_fma_f64 v[1:2], v[1:2], -0.5, v[116:117]
	v_add_f64 v[116:117], v[116:117], v[22:23]
	v_add_f64 v[118:119], v[118:119], v[28:29]
	v_add_f64 v[28:29], v[22:23], -v[26:27]
	v_fma_f64 v[22:23], v[24:25], s[10:11], v[1:2]
	v_add_f64 v[116:117], v[116:117], v[26:27]
	v_fma_f64 v[26:27], v[24:25], s[28:29], v[1:2]
	v_add_f64 v[1:2], v[16:17], v[18:19]
	v_fma_f64 v[24:25], v[28:29], s[28:29], v[120:121]
	v_fma_f64 v[28:29], v[28:29], s[10:11], v[120:121]
	ds_read_b128 v[120:123], v0 offset:720
	ds_write_b128 v0, v[40:43]
	ds_write_b128 v0, v[8:11] offset:800
	buffer_load_dword v8, off, s[36:39], 0 offset:328 ; 4-byte Folded Reload
	buffer_load_dword v9, off, s[36:39], 0 offset:332 ; 4-byte Folded Reload
	s_waitcnt lgkmcnt(2)
	v_fma_f64 v[126:127], v[124:125], -0.5, v[122:123]
	v_add_f64 v[122:123], v[122:123], v[20:21]
	v_fma_f64 v[1:2], v[1:2], -0.5, v[120:121]
	v_add_f64 v[120:121], v[120:121], v[16:17]
	v_add_f64 v[20:21], v[20:21], -v[30:31]
	v_add_f64 v[122:123], v[122:123], v[30:31]
	v_add_f64 v[30:31], v[16:17], -v[18:19]
	v_add_f64 v[120:121], v[120:121], v[18:19]
	v_fma_f64 v[16:17], v[20:21], s[10:11], v[1:2]
	v_fma_f64 v[124:125], v[20:21], s[28:29], v[1:2]
	v_fma_f64 v[18:19], v[30:31], s[28:29], v[126:127]
	v_fma_f64 v[126:127], v[30:31], s[10:11], v[126:127]
	ds_write_b128 v0, v[4:7] offset:1600
	ds_write_b128 v0, v[12:15] offset:80
	;; [unrolled: 1-line block ×28, first 2 shown]
	s_waitcnt lgkmcnt(0)
	; wave barrier
	s_waitcnt lgkmcnt(0)
	ds_read_b128 v[1:4], v0
	buffer_load_dword v11, off, s[36:39], 0 offset:312 ; 4-byte Folded Reload
	buffer_load_dword v12, off, s[36:39], 0 offset:316 ; 4-byte Folded Reload
	;; [unrolled: 1-line block ×4, first 2 shown]
	v_mov_b32_e32 v17, s5
	s_mul_hi_u32 s5, s0, 0xf0
	s_waitcnt vmcnt(5)
	v_mad_u64_u32 v[20:21], s[6:7], s2, v8, 0
	v_mov_b32_e32 v5, v21
	s_waitcnt vmcnt(0) lgkmcnt(0)
	v_mul_f64 v[6:7], v[13:14], v[3:4]
	v_mad_u64_u32 v[8:9], s[2:3], s3, v8, v[5:6]
	v_mul_f64 v[9:10], v[13:14], v[1:2]
	v_fma_f64 v[1:2], v[11:12], v[1:2], v[6:7]
	v_mov_b32_e32 v5, v11
	v_mov_b32_e32 v7, v175
	;; [unrolled: 1-line block ×3, first 2 shown]
	v_mad_u64_u32 v[11:12], s[2:3], s0, v7, 0
	s_mov_b32 s2, 0xb4e81b4f
	v_mov_b32_e32 v21, v8
	v_fma_f64 v[9:10], v[5:6], v[3:4], -v[9:10]
	s_mov_b32 s3, 0x3f7b4e81
	v_mov_b32_e32 v3, v12
	v_mad_u64_u32 v[12:13], s[6:7], s1, v7, v[3:4]
	ds_read_b128 v[3:6], v0 offset:240
	v_mul_f64 v[7:8], v[1:2], s[2:3]
	v_lshlrev_b64 v[1:2], 4, v[20:21]
	buffer_load_dword v18, off, s[36:39], 0 offset:296 ; 4-byte Folded Reload
	buffer_load_dword v19, off, s[36:39], 0 offset:300 ; 4-byte Folded Reload
	buffer_load_dword v20, off, s[36:39], 0 offset:304 ; 4-byte Folded Reload
	buffer_load_dword v21, off, s[36:39], 0 offset:308 ; 4-byte Folded Reload
	v_mul_f64 v[9:10], v[9:10], s[2:3]
	v_add_co_u32_e32 v1, vcc, s4, v1
	v_lshlrev_b64 v[11:12], 4, v[11:12]
	v_addc_co_u32_e32 v2, vcc, v17, v2, vcc
	v_add_co_u32_e32 v17, vcc, v1, v11
	s_mul_i32 s4, s1, 0xf0
	s_add_i32 s4, s5, s4
	s_mul_i32 s5, s0, 0xf0
	s_waitcnt vmcnt(0) lgkmcnt(0)
	v_mul_f64 v[13:14], v[20:21], v[5:6]
	v_mul_f64 v[15:16], v[20:21], v[3:4]
	v_fma_f64 v[13:14], v[18:19], v[3:4], v[13:14]
	v_fma_f64 v[15:16], v[18:19], v[5:6], -v[15:16]
	v_addc_co_u32_e32 v18, vcc, v2, v12, vcc
	global_store_dwordx4 v[17:18], v[7:10], off
	ds_read_b128 v[3:6], v0 offset:480
	v_add_co_u32_e32 v17, vcc, s5, v17
	v_mul_f64 v[7:8], v[13:14], s[2:3]
	buffer_load_dword v11, off, s[36:39], 0 offset:280 ; 4-byte Folded Reload
	buffer_load_dword v12, off, s[36:39], 0 offset:284 ; 4-byte Folded Reload
	;; [unrolled: 1-line block ×4, first 2 shown]
	v_mul_f64 v[9:10], v[15:16], s[2:3]
	s_waitcnt vmcnt(0) lgkmcnt(0)
	v_mul_f64 v[15:16], v[13:14], v[5:6]
	v_mul_f64 v[19:20], v[13:14], v[3:4]
	v_mov_b32_e32 v22, v12
	v_mov_b32_e32 v21, v11
	ds_read_b128 v[11:14], v0 offset:720
	v_fma_f64 v[3:4], v[21:22], v[3:4], v[15:16]
	v_fma_f64 v[5:6], v[21:22], v[5:6], -v[19:20]
	buffer_load_dword v21, off, s[36:39], 0 offset:264 ; 4-byte Folded Reload
	buffer_load_dword v22, off, s[36:39], 0 offset:268 ; 4-byte Folded Reload
	;; [unrolled: 1-line block ×4, first 2 shown]
	v_mov_b32_e32 v19, s4
	v_addc_co_u32_e32 v18, vcc, v18, v19, vcc
	global_store_dwordx4 v[17:18], v[7:10], off
	ds_read_b128 v[7:10], v0 offset:960
	v_mul_f64 v[3:4], v[3:4], s[2:3]
	v_mul_f64 v[5:6], v[5:6], s[2:3]
	v_add_co_u32_e32 v17, vcc, s5, v17
	s_waitcnt vmcnt(1) lgkmcnt(1)
	v_mul_f64 v[15:16], v[23:24], v[13:14]
	v_mul_f64 v[19:20], v[23:24], v[11:12]
	v_fma_f64 v[11:12], v[21:22], v[11:12], v[15:16]
	v_fma_f64 v[13:14], v[21:22], v[13:14], -v[19:20]
	buffer_load_dword v21, off, s[36:39], 0 offset:232 ; 4-byte Folded Reload
	buffer_load_dword v22, off, s[36:39], 0 offset:236 ; 4-byte Folded Reload
	buffer_load_dword v23, off, s[36:39], 0 offset:240 ; 4-byte Folded Reload
	buffer_load_dword v24, off, s[36:39], 0 offset:244 ; 4-byte Folded Reload
	v_mov_b32_e32 v15, s4
	v_addc_co_u32_e32 v18, vcc, v18, v15, vcc
	global_store_dwordx4 v[17:18], v[3:6], off
	v_add_co_u32_e32 v17, vcc, s5, v17
	v_mul_f64 v[3:4], v[11:12], s[2:3]
	v_mul_f64 v[5:6], v[13:14], s[2:3]
	ds_read_b128 v[11:14], v0 offset:1200
	s_waitcnt vmcnt(1) lgkmcnt(1)
	v_mul_f64 v[15:16], v[23:24], v[9:10]
	v_mul_f64 v[19:20], v[23:24], v[7:8]
	v_fma_f64 v[7:8], v[21:22], v[7:8], v[15:16]
	v_fma_f64 v[9:10], v[21:22], v[9:10], -v[19:20]
	buffer_load_dword v21, off, s[36:39], 0 offset:200 ; 4-byte Folded Reload
	buffer_load_dword v22, off, s[36:39], 0 offset:204 ; 4-byte Folded Reload
	buffer_load_dword v23, off, s[36:39], 0 offset:208 ; 4-byte Folded Reload
	buffer_load_dword v24, off, s[36:39], 0 offset:212 ; 4-byte Folded Reload
	v_mov_b32_e32 v19, s4
	v_addc_co_u32_e32 v18, vcc, v18, v19, vcc
	global_store_dwordx4 v[17:18], v[3:6], off
	v_add_co_u32_e32 v17, vcc, s5, v17
	v_mul_f64 v[3:4], v[7:8], s[2:3]
	v_mul_f64 v[5:6], v[9:10], s[2:3]
	ds_read_b128 v[7:10], v0 offset:1440
	;; [unrolled: 16-line block ×3, first 2 shown]
	s_waitcnt vmcnt(1) lgkmcnt(1)
	v_mul_f64 v[15:16], v[23:24], v[9:10]
	v_mul_f64 v[19:20], v[23:24], v[7:8]
	v_fma_f64 v[7:8], v[21:22], v[7:8], v[15:16]
	v_fma_f64 v[9:10], v[21:22], v[9:10], -v[19:20]
	buffer_load_dword v22, off, s[36:39], 0 offset:168 ; 4-byte Folded Reload
	buffer_load_dword v23, off, s[36:39], 0 offset:172 ; 4-byte Folded Reload
	;; [unrolled: 1-line block ×4, first 2 shown]
	v_mov_b32_e32 v21, s4
	v_addc_co_u32_e32 v18, vcc, v18, v21, vcc
	global_store_dwordx4 v[17:18], v[3:6], off
	s_waitcnt vmcnt(1) lgkmcnt(0)
	v_mul_f64 v[15:16], v[24:25], v[13:14]
	v_mul_f64 v[19:20], v[24:25], v[11:12]
	;; [unrolled: 1-line block ×4, first 2 shown]
	v_fma_f64 v[7:8], v[22:23], v[11:12], v[15:16]
	v_fma_f64 v[9:10], v[22:23], v[13:14], -v[19:20]
	v_add_co_u32_e32 v14, vcc, s5, v17
	v_mov_b32_e32 v11, s4
	v_addc_co_u32_e32 v15, vcc, v18, v11, vcc
	global_store_dwordx4 v[14:15], v[3:6], off
	ds_read_b128 v[3:6], v0 offset:1920
	v_add_co_u32_e32 v16, vcc, s5, v14
	buffer_load_dword v11, off, s[36:39], 0 offset:152 ; 4-byte Folded Reload
	buffer_load_dword v12, off, s[36:39], 0 offset:156 ; 4-byte Folded Reload
	;; [unrolled: 1-line block ×5, first 2 shown]
	v_mov_b32_e32 v17, s4
	v_addc_co_u32_e32 v17, vcc, v15, v17, vcc
	v_mul_f64 v[7:8], v[7:8], s[2:3]
	v_mul_f64 v[9:10], v[9:10], s[2:3]
	s_waitcnt vmcnt(1) lgkmcnt(0)
	v_mul_f64 v[18:19], v[13:14], v[5:6]
	v_mul_f64 v[20:21], v[13:14], v[3:4]
	v_mov_b32_e32 v26, v12
	v_mov_b32_e32 v25, v11
	ds_read_b128 v[11:14], v0 offset:2160
	s_waitcnt vmcnt(0)
	v_mad_u64_u32 v[22:23], s[6:7], s0, v24, 0
	v_fma_f64 v[3:4], v[25:26], v[3:4], v[18:19]
	v_fma_f64 v[5:6], v[25:26], v[5:6], -v[20:21]
	buffer_load_dword v25, off, s[36:39], 0 offset:136 ; 4-byte Folded Reload
	buffer_load_dword v26, off, s[36:39], 0 offset:140 ; 4-byte Folded Reload
	;; [unrolled: 1-line block ×4, first 2 shown]
	v_mov_b32_e32 v15, v23
	v_mad_u64_u32 v[23:24], s[6:7], s1, v24, v[15:16]
	global_store_dwordx4 v[16:17], v[7:10], off
	ds_read_b128 v[7:10], v0 offset:80
	v_mul_f64 v[3:4], v[3:4], s[2:3]
	v_mul_f64 v[5:6], v[5:6], s[2:3]
	v_lshlrev_b64 v[22:23], 4, v[22:23]
	s_mul_i32 s6, s1, 0x1e0
	s_mul_hi_u32 s7, s0, 0x1e0
	s_add_i32 s6, s7, s6
	s_mul_i32 s7, s0, 0x1e0
	s_waitcnt vmcnt(1) lgkmcnt(1)
	v_mul_f64 v[18:19], v[27:28], v[13:14]
	v_mul_f64 v[20:21], v[27:28], v[11:12]
	v_mov_b32_e32 v27, 0xfffff7e0
	v_fma_f64 v[11:12], v[25:26], v[11:12], v[18:19]
	v_add_co_u32_e32 v18, vcc, v1, v22
	v_addc_co_u32_e32 v19, vcc, v2, v23, vcc
	global_store_dwordx4 v[18:19], v[3:6], off
	v_fma_f64 v[13:14], v[25:26], v[13:14], -v[20:21]
	buffer_load_dword v20, off, s[36:39], 0 offset:480 ; 4-byte Folded Reload
	buffer_load_dword v21, off, s[36:39], 0 offset:484 ; 4-byte Folded Reload
	;; [unrolled: 1-line block ×4, first 2 shown]
	v_mul_f64 v[3:4], v[11:12], s[2:3]
	v_add_co_u32_e32 v15, vcc, s7, v16
	v_mov_b32_e32 v16, s6
	v_addc_co_u32_e32 v16, vcc, v17, v16, vcc
	v_mul_f64 v[5:6], v[13:14], s[2:3]
	s_waitcnt vmcnt(0) lgkmcnt(0)
	v_mul_f64 v[11:12], v[22:23], v[9:10]
	v_mul_f64 v[18:19], v[22:23], v[7:8]
	v_fma_f64 v[7:8], v[20:21], v[7:8], v[11:12]
	ds_read_b128 v[11:14], v0 offset:320
	v_fma_f64 v[9:10], v[20:21], v[9:10], -v[18:19]
	buffer_load_dword v21, off, s[36:39], 0 offset:464 ; 4-byte Folded Reload
	buffer_load_dword v22, off, s[36:39], 0 offset:468 ; 4-byte Folded Reload
	;; [unrolled: 1-line block ×4, first 2 shown]
	s_waitcnt vmcnt(0) lgkmcnt(0)
	v_mul_f64 v[17:18], v[23:24], v[13:14]
	v_mul_f64 v[19:20], v[23:24], v[11:12]
	global_store_dwordx4 v[15:16], v[3:6], off
	v_mad_u64_u32 v[15:16], s[8:9], s0, v27, v[15:16]
	v_mul_f64 v[3:4], v[7:8], s[2:3]
	v_mul_f64 v[5:6], v[9:10], s[2:3]
	ds_read_b128 v[7:10], v0 offset:560
	v_fma_f64 v[11:12], v[21:22], v[11:12], v[17:18]
	v_fma_f64 v[13:14], v[21:22], v[13:14], -v[19:20]
	buffer_load_dword v21, off, s[36:39], 0 offset:448 ; 4-byte Folded Reload
	buffer_load_dword v22, off, s[36:39], 0 offset:452 ; 4-byte Folded Reload
	;; [unrolled: 1-line block ×4, first 2 shown]
	s_mul_i32 s8, s1, 0xfffff7e0
	s_sub_i32 s8, s8, s0
	v_add_u32_e32 v16, s8, v16
	global_store_dwordx4 v[15:16], v[3:6], off
	v_add_co_u32_e32 v15, vcc, s5, v15
	v_mul_f64 v[3:4], v[11:12], s[2:3]
	v_mul_f64 v[5:6], v[13:14], s[2:3]
	ds_read_b128 v[11:14], v0 offset:800
	s_waitcnt vmcnt(1) lgkmcnt(1)
	v_mul_f64 v[17:18], v[23:24], v[9:10]
	v_mul_f64 v[19:20], v[23:24], v[7:8]
	v_fma_f64 v[7:8], v[21:22], v[7:8], v[17:18]
	v_fma_f64 v[9:10], v[21:22], v[9:10], -v[19:20]
	buffer_load_dword v21, off, s[36:39], 0 offset:416 ; 4-byte Folded Reload
	buffer_load_dword v22, off, s[36:39], 0 offset:420 ; 4-byte Folded Reload
	;; [unrolled: 1-line block ×4, first 2 shown]
	v_mov_b32_e32 v17, s4
	v_addc_co_u32_e32 v16, vcc, v16, v17, vcc
	global_store_dwordx4 v[15:16], v[3:6], off
	v_add_co_u32_e32 v15, vcc, s5, v15
	v_mul_f64 v[3:4], v[7:8], s[2:3]
	v_mul_f64 v[5:6], v[9:10], s[2:3]
	ds_read_b128 v[7:10], v0 offset:1040
	s_waitcnt vmcnt(1) lgkmcnt(1)
	v_mul_f64 v[17:18], v[23:24], v[13:14]
	v_mul_f64 v[19:20], v[23:24], v[11:12]
	v_fma_f64 v[11:12], v[21:22], v[11:12], v[17:18]
	v_fma_f64 v[13:14], v[21:22], v[13:14], -v[19:20]
	v_mov_b32_e32 v21, s4
	v_addc_co_u32_e32 v16, vcc, v16, v21, vcc
	buffer_load_dword v22, off, s[36:39], 0 offset:432 ; 4-byte Folded Reload
	buffer_load_dword v23, off, s[36:39], 0 offset:436 ; 4-byte Folded Reload
	;; [unrolled: 1-line block ×4, first 2 shown]
	s_waitcnt vmcnt(0) lgkmcnt(0)
	v_mul_f64 v[17:18], v[24:25], v[9:10]
	global_store_dwordx4 v[15:16], v[3:6], off
	v_mul_f64 v[19:20], v[24:25], v[7:8]
	v_mul_f64 v[3:4], v[11:12], s[2:3]
	;; [unrolled: 1-line block ×3, first 2 shown]
	v_add_co_u32_e32 v14, vcc, s5, v15
	v_mov_b32_e32 v11, s4
	v_addc_co_u32_e32 v15, vcc, v16, v11, vcc
	v_add_co_u32_e32 v16, vcc, s5, v14
	global_store_dwordx4 v[14:15], v[3:6], off
	ds_read_b128 v[3:6], v0 offset:1280
	buffer_load_dword v11, off, s[36:39], 0 offset:400 ; 4-byte Folded Reload
	buffer_load_dword v12, off, s[36:39], 0 offset:404 ; 4-byte Folded Reload
	;; [unrolled: 1-line block ×4, first 2 shown]
	v_fma_f64 v[7:8], v[22:23], v[7:8], v[17:18]
	v_fma_f64 v[9:10], v[22:23], v[9:10], -v[19:20]
	buffer_load_dword v24, off, s[36:39], 0 offset:16 ; 4-byte Folded Reload
	v_mov_b32_e32 v17, s4
	v_addc_co_u32_e32 v17, vcc, v15, v17, vcc
	v_mul_f64 v[7:8], v[7:8], s[2:3]
	v_mul_f64 v[9:10], v[9:10], s[2:3]
	s_waitcnt vmcnt(3)
	v_mov_b32_e32 v26, v12
	s_waitcnt vmcnt(1) lgkmcnt(0)
	v_mul_f64 v[18:19], v[13:14], v[5:6]
	v_mul_f64 v[20:21], v[13:14], v[3:4]
	v_mov_b32_e32 v25, v11
	ds_read_b128 v[11:14], v0 offset:1520
	buffer_load_dword v28, off, s[36:39], 0 offset:384 ; 4-byte Folded Reload
	buffer_load_dword v29, off, s[36:39], 0 offset:388 ; 4-byte Folded Reload
	;; [unrolled: 1-line block ×4, first 2 shown]
	s_waitcnt vmcnt(4)
	v_mad_u64_u32 v[22:23], s[10:11], s0, v24, 0
	global_store_dwordx4 v[16:17], v[7:10], off
	v_fma_f64 v[3:4], v[25:26], v[3:4], v[18:19]
	v_fma_f64 v[5:6], v[25:26], v[5:6], -v[20:21]
	ds_read_b128 v[7:10], v0 offset:1760
	v_mov_b32_e32 v15, v23
	v_mad_u64_u32 v[23:24], s[10:11], s1, v24, v[15:16]
	v_lshlrev_b64 v[22:23], 4, v[22:23]
	v_mul_f64 v[3:4], v[3:4], s[2:3]
	v_mul_f64 v[5:6], v[5:6], s[2:3]
	s_waitcnt vmcnt(1) lgkmcnt(1)
	v_mul_f64 v[18:19], v[30:31], v[13:14]
	v_mul_f64 v[20:21], v[30:31], v[11:12]
	v_fma_f64 v[11:12], v[28:29], v[11:12], v[18:19]
	v_fma_f64 v[13:14], v[28:29], v[13:14], -v[20:21]
	buffer_load_dword v28, off, s[36:39], 0 offset:368 ; 4-byte Folded Reload
	buffer_load_dword v29, off, s[36:39], 0 offset:372 ; 4-byte Folded Reload
	;; [unrolled: 1-line block ×4, first 2 shown]
	v_add_co_u32_e32 v18, vcc, v1, v22
	v_addc_co_u32_e32 v19, vcc, v2, v23, vcc
	global_store_dwordx4 v[18:19], v[3:6], off
	v_add_co_u32_e32 v15, vcc, s7, v16
	v_mul_f64 v[3:4], v[11:12], s[2:3]
	v_mul_f64 v[5:6], v[13:14], s[2:3]
	ds_read_b128 v[11:14], v0 offset:2000
	v_mov_b32_e32 v16, s6
	v_addc_co_u32_e32 v16, vcc, v17, v16, vcc
	v_mov_b32_e32 v17, s4
	s_waitcnt vmcnt(1) lgkmcnt(1)
	v_mul_f64 v[22:23], v[30:31], v[7:8]
	v_mul_f64 v[20:21], v[30:31], v[9:10]
	v_fma_f64 v[9:10], v[28:29], v[9:10], -v[22:23]
	buffer_load_dword v22, off, s[36:39], 0 offset:352 ; 4-byte Folded Reload
	buffer_load_dword v23, off, s[36:39], 0 offset:356 ; 4-byte Folded Reload
	;; [unrolled: 1-line block ×4, first 2 shown]
	v_fma_f64 v[7:8], v[28:29], v[7:8], v[20:21]
	global_store_dwordx4 v[15:16], v[3:6], off
	v_add_co_u32_e32 v15, vcc, s5, v15
	v_addc_co_u32_e32 v16, vcc, v16, v17, vcc
	v_mul_f64 v[5:6], v[9:10], s[2:3]
	v_mul_f64 v[3:4], v[7:8], s[2:3]
	ds_read_b128 v[7:10], v0 offset:2240
	s_waitcnt vmcnt(1) lgkmcnt(1)
	v_mul_f64 v[18:19], v[24:25], v[13:14]
	v_mul_f64 v[20:21], v[24:25], v[11:12]
	v_fma_f64 v[11:12], v[22:23], v[11:12], v[18:19]
	v_fma_f64 v[13:14], v[22:23], v[13:14], -v[20:21]
	buffer_load_dword v21, off, s[36:39], 0 offset:336 ; 4-byte Folded Reload
	buffer_load_dword v22, off, s[36:39], 0 offset:340 ; 4-byte Folded Reload
	;; [unrolled: 1-line block ×4, first 2 shown]
	s_waitcnt vmcnt(0) lgkmcnt(0)
	v_mul_f64 v[17:18], v[23:24], v[9:10]
	v_mul_f64 v[19:20], v[23:24], v[7:8]
	v_mov_b32_e32 v23, v22
	v_mov_b32_e32 v22, v21
	global_store_dwordx4 v[15:16], v[3:6], off
	v_add_co_u32_e32 v21, vcc, s5, v15
	v_mul_f64 v[3:4], v[11:12], s[2:3]
	v_mul_f64 v[5:6], v[13:14], s[2:3]
	ds_read_b128 v[11:14], v0 offset:160
	v_fma_f64 v[17:18], v[22:23], v[7:8], v[17:18]
	v_fma_f64 v[19:20], v[22:23], v[9:10], -v[19:20]
	buffer_load_dword v7, off, s[36:39], 0 offset:248 ; 4-byte Folded Reload
	buffer_load_dword v8, off, s[36:39], 0 offset:252 ; 4-byte Folded Reload
	;; [unrolled: 1-line block ×4, first 2 shown]
	s_waitcnt vmcnt(0) lgkmcnt(0)
	v_mul_f64 v[23:24], v[9:10], v[13:14]
	v_mul_f64 v[25:26], v[9:10], v[11:12]
	v_mov_b32_e32 v29, v8
	v_mov_b32_e32 v28, v7
	;; [unrolled: 1-line block ×3, first 2 shown]
	v_addc_co_u32_e32 v22, vcc, v16, v7, vcc
	ds_read_b128 v[7:10], v0 offset:400
	v_fma_f64 v[11:12], v[28:29], v[11:12], v[23:24]
	v_fma_f64 v[13:14], v[28:29], v[13:14], -v[25:26]
	buffer_load_dword v28, off, s[36:39], 0 offset:216 ; 4-byte Folded Reload
	buffer_load_dword v29, off, s[36:39], 0 offset:220 ; 4-byte Folded Reload
	;; [unrolled: 1-line block ×4, first 2 shown]
	v_mul_f64 v[15:16], v[17:18], s[2:3]
	v_mul_f64 v[17:18], v[19:20], s[2:3]
	v_add_co_u32_e32 v25, vcc, s5, v21
	v_mov_b32_e32 v26, s4
	v_mul_f64 v[11:12], v[11:12], s[2:3]
	v_mul_f64 v[13:14], v[13:14], s[2:3]
	v_addc_co_u32_e32 v26, vcc, v22, v26, vcc
	global_store_dwordx4 v[21:22], v[3:6], off
	global_store_dwordx4 v[25:26], v[15:18], off
	ds_read_b128 v[3:6], v0 offset:640
	v_mov_b32_e32 v21, v174
	s_waitcnt vmcnt(2) lgkmcnt(1)
	v_mul_f64 v[19:20], v[30:31], v[9:10]
	v_mul_f64 v[23:24], v[30:31], v[7:8]
	v_fma_f64 v[7:8], v[28:29], v[7:8], v[19:20]
	v_mad_u64_u32 v[19:20], s[10:11], s0, v27, v[25:26]
	v_fma_f64 v[9:10], v[28:29], v[9:10], -v[23:24]
	v_add_u32_e32 v20, s8, v20
	global_store_dwordx4 v[19:20], v[11:14], off
	buffer_load_dword v22, off, s[36:39], 0 offset:120 ; 4-byte Folded Reload
	buffer_load_dword v23, off, s[36:39], 0 offset:124 ; 4-byte Folded Reload
	;; [unrolled: 1-line block ×4, first 2 shown]
	v_add_co_u32_e32 v15, vcc, s5, v19
	v_mov_b32_e32 v13, s4
	v_addc_co_u32_e32 v16, vcc, v20, v13, vcc
	v_mad_u64_u32 v[19:20], s[8:9], s0, v21, 0
	v_mul_f64 v[7:8], v[7:8], s[2:3]
	v_mul_f64 v[9:10], v[9:10], s[2:3]
	s_waitcnt vmcnt(0) lgkmcnt(0)
	v_mul_f64 v[11:12], v[24:25], v[5:6]
	v_mul_f64 v[17:18], v[24:25], v[3:4]
	v_fma_f64 v[3:4], v[22:23], v[3:4], v[11:12]
	ds_read_b128 v[11:14], v0 offset:880
	buffer_load_dword v25, off, s[36:39], 0 offset:104 ; 4-byte Folded Reload
	buffer_load_dword v26, off, s[36:39], 0 offset:108 ; 4-byte Folded Reload
	;; [unrolled: 1-line block ×4, first 2 shown]
	v_fma_f64 v[5:6], v[22:23], v[5:6], -v[17:18]
	v_mov_b32_e32 v17, v20
	v_mad_u64_u32 v[17:18], s[0:1], s1, v21, v[17:18]
	global_store_dwordx4 v[15:16], v[7:10], off
	ds_read_b128 v[7:10], v0 offset:1120
	v_mov_b32_e32 v20, v17
	v_lshlrev_b64 v[17:18], 4, v[19:20]
	v_mul_f64 v[3:4], v[3:4], s[2:3]
	v_mul_f64 v[5:6], v[5:6], s[2:3]
	v_add_co_u32_e32 v1, vcc, v1, v17
	v_addc_co_u32_e32 v2, vcc, v2, v18, vcc
	s_waitcnt vmcnt(1) lgkmcnt(1)
	v_mul_f64 v[21:22], v[27:28], v[13:14]
	v_mul_f64 v[23:24], v[27:28], v[11:12]
	v_fma_f64 v[11:12], v[25:26], v[11:12], v[21:22]
	v_fma_f64 v[13:14], v[25:26], v[13:14], -v[23:24]
	buffer_load_dword v21, off, s[36:39], 0 offset:88 ; 4-byte Folded Reload
	buffer_load_dword v22, off, s[36:39], 0 offset:92 ; 4-byte Folded Reload
	;; [unrolled: 1-line block ×4, first 2 shown]
	s_waitcnt vmcnt(0) lgkmcnt(0)
	v_mul_f64 v[19:20], v[23:24], v[9:10]
	v_mul_f64 v[17:18], v[23:24], v[7:8]
	global_store_dwordx4 v[1:2], v[3:6], off
	v_mul_f64 v[1:2], v[11:12], s[2:3]
	v_mul_f64 v[3:4], v[13:14], s[2:3]
	v_add_co_u32_e32 v13, vcc, s7, v15
	v_mov_b32_e32 v14, s6
	v_fma_f64 v[11:12], v[21:22], v[7:8], v[19:20]
	ds_read_b128 v[5:8], v0 offset:1360
	v_fma_f64 v[9:10], v[21:22], v[9:10], -v[17:18]
	buffer_load_dword v19, off, s[36:39], 0 offset:56 ; 4-byte Folded Reload
	buffer_load_dword v20, off, s[36:39], 0 offset:60 ; 4-byte Folded Reload
	;; [unrolled: 1-line block ×4, first 2 shown]
	v_addc_co_u32_e32 v14, vcc, v16, v14, vcc
	global_store_dwordx4 v[13:14], v[1:4], off
	v_add_co_u32_e32 v13, vcc, s5, v13
	v_mul_f64 v[1:2], v[11:12], s[2:3]
	v_mul_f64 v[3:4], v[9:10], s[2:3]
	ds_read_b128 v[9:12], v0 offset:1600
	s_waitcnt vmcnt(1) lgkmcnt(1)
	v_mul_f64 v[15:16], v[21:22], v[7:8]
	v_mul_f64 v[17:18], v[21:22], v[5:6]
	v_fma_f64 v[5:6], v[19:20], v[5:6], v[15:16]
	v_fma_f64 v[7:8], v[19:20], v[7:8], -v[17:18]
	buffer_load_dword v19, off, s[36:39], 0 offset:72 ; 4-byte Folded Reload
	buffer_load_dword v20, off, s[36:39], 0 offset:76 ; 4-byte Folded Reload
	;; [unrolled: 1-line block ×4, first 2 shown]
	v_mov_b32_e32 v17, s4
	v_addc_co_u32_e32 v14, vcc, v14, v17, vcc
	global_store_dwordx4 v[13:14], v[1:4], off
	v_add_co_u32_e32 v13, vcc, s5, v13
	v_mul_f64 v[1:2], v[5:6], s[2:3]
	v_mul_f64 v[3:4], v[7:8], s[2:3]
	ds_read_b128 v[5:8], v0 offset:1840
	s_waitcnt vmcnt(1) lgkmcnt(1)
	v_mul_f64 v[15:16], v[21:22], v[11:12]
	v_mul_f64 v[17:18], v[21:22], v[9:10]
	v_fma_f64 v[9:10], v[19:20], v[9:10], v[15:16]
	v_fma_f64 v[11:12], v[19:20], v[11:12], -v[17:18]
	buffer_load_dword v20, off, s[36:39], 0 offset:40 ; 4-byte Folded Reload
	buffer_load_dword v21, off, s[36:39], 0 offset:44 ; 4-byte Folded Reload
	;; [unrolled: 1-line block ×4, first 2 shown]
	v_mov_b32_e32 v15, s4
	v_addc_co_u32_e32 v14, vcc, v14, v15, vcc
	global_store_dwordx4 v[13:14], v[1:4], off
	v_add_co_u32_e32 v13, vcc, s5, v13
	v_mul_f64 v[1:2], v[9:10], s[2:3]
	v_mul_f64 v[3:4], v[11:12], s[2:3]
	v_mov_b32_e32 v19, s4
	v_addc_co_u32_e32 v14, vcc, v14, v19, vcc
	global_store_dwordx4 v[13:14], v[1:4], off
	v_add_co_u32_e32 v13, vcc, s5, v13
	s_waitcnt vmcnt(2) lgkmcnt(0)
	v_mul_f64 v[15:16], v[22:23], v[7:8]
	v_mul_f64 v[17:18], v[22:23], v[5:6]
	v_fma_f64 v[9:10], v[20:21], v[5:6], v[15:16]
	v_fma_f64 v[11:12], v[20:21], v[7:8], -v[17:18]
	ds_read_b128 v[5:8], v0 offset:2080
	ds_read_b128 v[0:3], v0 offset:2320
	buffer_load_dword v19, off, s[36:39], 0 offset:20 ; 4-byte Folded Reload
	buffer_load_dword v20, off, s[36:39], 0 offset:24 ; 4-byte Folded Reload
	;; [unrolled: 1-line block ×4, first 2 shown]
	buffer_load_dword v25, off, s[36:39], 0 ; 4-byte Folded Reload
	buffer_load_dword v26, off, s[36:39], 0 offset:4 ; 4-byte Folded Reload
	buffer_load_dword v27, off, s[36:39], 0 offset:8 ; 4-byte Folded Reload
	;; [unrolled: 1-line block ×3, first 2 shown]
	v_mul_f64 v[9:10], v[9:10], s[2:3]
	v_mul_f64 v[11:12], v[11:12], s[2:3]
	s_waitcnt vmcnt(4) lgkmcnt(1)
	v_mul_f64 v[15:16], v[21:22], v[7:8]
	v_mul_f64 v[17:18], v[21:22], v[5:6]
	v_mov_b32_e32 v24, v20
	v_mov_b32_e32 v23, v19
	s_waitcnt vmcnt(0) lgkmcnt(0)
	v_mul_f64 v[19:20], v[27:28], v[2:3]
	v_mul_f64 v[21:22], v[27:28], v[0:1]
	v_fma_f64 v[4:5], v[23:24], v[5:6], v[15:16]
	v_fma_f64 v[6:7], v[23:24], v[7:8], -v[17:18]
	v_mov_b32_e32 v8, s4
	v_addc_co_u32_e32 v14, vcc, v14, v8, vcc
	v_fma_f64 v[15:16], v[25:26], v[0:1], v[19:20]
	v_fma_f64 v[17:18], v[25:26], v[2:3], -v[21:22]
	global_store_dwordx4 v[13:14], v[9:12], off
	v_mul_f64 v[0:1], v[4:5], s[2:3]
	v_mul_f64 v[2:3], v[6:7], s[2:3]
	v_add_co_u32_e32 v8, vcc, s5, v13
	v_mov_b32_e32 v9, s4
	v_mul_f64 v[4:5], v[15:16], s[2:3]
	v_mul_f64 v[6:7], v[17:18], s[2:3]
	v_addc_co_u32_e32 v9, vcc, v14, v9, vcc
	global_store_dwordx4 v[8:9], v[0:3], off
	s_nop 0
	v_add_co_u32_e32 v0, vcc, s5, v8
	v_mov_b32_e32 v1, s4
	v_addc_co_u32_e32 v1, vcc, v9, v1, vcc
	global_store_dwordx4 v[0:1], v[4:7], off
.LBB0_2:
	s_endpgm
	.section	.rodata,"a",@progbits
	.p2align	6, 0x0
	.amdhsa_kernel bluestein_single_fwd_len150_dim1_dp_op_CI_CI
		.amdhsa_group_segment_fixed_size 28800
		.amdhsa_private_segment_fixed_size 596
		.amdhsa_kernarg_size 104
		.amdhsa_user_sgpr_count 6
		.amdhsa_user_sgpr_private_segment_buffer 1
		.amdhsa_user_sgpr_dispatch_ptr 0
		.amdhsa_user_sgpr_queue_ptr 0
		.amdhsa_user_sgpr_kernarg_segment_ptr 1
		.amdhsa_user_sgpr_dispatch_id 0
		.amdhsa_user_sgpr_flat_scratch_init 0
		.amdhsa_user_sgpr_private_segment_size 0
		.amdhsa_uses_dynamic_stack 0
		.amdhsa_system_sgpr_private_segment_wavefront_offset 1
		.amdhsa_system_sgpr_workgroup_id_x 1
		.amdhsa_system_sgpr_workgroup_id_y 0
		.amdhsa_system_sgpr_workgroup_id_z 0
		.amdhsa_system_sgpr_workgroup_info 0
		.amdhsa_system_vgpr_workitem_id 0
		.amdhsa_next_free_vgpr 256
		.amdhsa_next_free_sgpr 40
		.amdhsa_reserve_vcc 1
		.amdhsa_reserve_flat_scratch 0
		.amdhsa_float_round_mode_32 0
		.amdhsa_float_round_mode_16_64 0
		.amdhsa_float_denorm_mode_32 3
		.amdhsa_float_denorm_mode_16_64 3
		.amdhsa_dx10_clamp 1
		.amdhsa_ieee_mode 1
		.amdhsa_fp16_overflow 0
		.amdhsa_exception_fp_ieee_invalid_op 0
		.amdhsa_exception_fp_denorm_src 0
		.amdhsa_exception_fp_ieee_div_zero 0
		.amdhsa_exception_fp_ieee_overflow 0
		.amdhsa_exception_fp_ieee_underflow 0
		.amdhsa_exception_fp_ieee_inexact 0
		.amdhsa_exception_int_div_zero 0
	.end_amdhsa_kernel
	.text
.Lfunc_end0:
	.size	bluestein_single_fwd_len150_dim1_dp_op_CI_CI, .Lfunc_end0-bluestein_single_fwd_len150_dim1_dp_op_CI_CI
                                        ; -- End function
	.section	.AMDGPU.csdata,"",@progbits
; Kernel info:
; codeLenInByte = 31392
; NumSgprs: 44
; NumVgprs: 256
; ScratchSize: 596
; MemoryBound: 0
; FloatMode: 240
; IeeeMode: 1
; LDSByteSize: 28800 bytes/workgroup (compile time only)
; SGPRBlocks: 5
; VGPRBlocks: 63
; NumSGPRsForWavesPerEU: 44
; NumVGPRsForWavesPerEU: 256
; Occupancy: 1
; WaveLimiterHint : 1
; COMPUTE_PGM_RSRC2:SCRATCH_EN: 1
; COMPUTE_PGM_RSRC2:USER_SGPR: 6
; COMPUTE_PGM_RSRC2:TRAP_HANDLER: 0
; COMPUTE_PGM_RSRC2:TGID_X_EN: 1
; COMPUTE_PGM_RSRC2:TGID_Y_EN: 0
; COMPUTE_PGM_RSRC2:TGID_Z_EN: 0
; COMPUTE_PGM_RSRC2:TIDIG_COMP_CNT: 0
	.type	__hip_cuid_fe72387bb5de3daf,@object ; @__hip_cuid_fe72387bb5de3daf
	.section	.bss,"aw",@nobits
	.globl	__hip_cuid_fe72387bb5de3daf
__hip_cuid_fe72387bb5de3daf:
	.byte	0                               ; 0x0
	.size	__hip_cuid_fe72387bb5de3daf, 1

	.ident	"AMD clang version 19.0.0git (https://github.com/RadeonOpenCompute/llvm-project roc-6.4.0 25133 c7fe45cf4b819c5991fe208aaa96edf142730f1d)"
	.section	".note.GNU-stack","",@progbits
	.addrsig
	.addrsig_sym __hip_cuid_fe72387bb5de3daf
	.amdgpu_metadata
---
amdhsa.kernels:
  - .args:
      - .actual_access:  read_only
        .address_space:  global
        .offset:         0
        .size:           8
        .value_kind:     global_buffer
      - .actual_access:  read_only
        .address_space:  global
        .offset:         8
        .size:           8
        .value_kind:     global_buffer
      - .actual_access:  read_only
        .address_space:  global
        .offset:         16
        .size:           8
        .value_kind:     global_buffer
      - .actual_access:  read_only
        .address_space:  global
        .offset:         24
        .size:           8
        .value_kind:     global_buffer
      - .actual_access:  read_only
        .address_space:  global
        .offset:         32
        .size:           8
        .value_kind:     global_buffer
      - .offset:         40
        .size:           8
        .value_kind:     by_value
      - .address_space:  global
        .offset:         48
        .size:           8
        .value_kind:     global_buffer
      - .address_space:  global
        .offset:         56
        .size:           8
        .value_kind:     global_buffer
      - .address_space:  global
        .offset:         64
        .size:           8
        .value_kind:     global_buffer
      - .address_space:  global
        .offset:         72
        .size:           8
        .value_kind:     global_buffer
      - .offset:         80
        .size:           4
        .value_kind:     by_value
      - .address_space:  global
        .offset:         88
        .size:           8
        .value_kind:     global_buffer
      - .address_space:  global
        .offset:         96
        .size:           8
        .value_kind:     global_buffer
    .group_segment_fixed_size: 28800
    .kernarg_segment_align: 8
    .kernarg_segment_size: 104
    .language:       OpenCL C
    .language_version:
      - 2
      - 0
    .max_flat_workgroup_size: 60
    .name:           bluestein_single_fwd_len150_dim1_dp_op_CI_CI
    .private_segment_fixed_size: 596
    .sgpr_count:     44
    .sgpr_spill_count: 0
    .symbol:         bluestein_single_fwd_len150_dim1_dp_op_CI_CI.kd
    .uniform_work_group_size: 1
    .uses_dynamic_stack: false
    .vgpr_count:     256
    .vgpr_spill_count: 148
    .wavefront_size: 64
amdhsa.target:   amdgcn-amd-amdhsa--gfx906
amdhsa.version:
  - 1
  - 2
...

	.end_amdgpu_metadata
